;; amdgpu-corpus repo=zjin-lcf/HeCBench kind=compiled arch=gfx90a opt=O3
	.text
	.amdgcn_target "amdgcn-amd-amdhsa--gfx90a"
	.amdhsa_code_object_version 6
	.section	.text._Z7dfs_gpuILi7EEvPl,"axG",@progbits,_Z7dfs_gpuILi7EEvPl,comdat
	.protected	_Z7dfs_gpuILi7EEvPl     ; -- Begin function _Z7dfs_gpuILi7EEvPl
	.globl	_Z7dfs_gpuILi7EEvPl
	.p2align	8
	.type	_Z7dfs_gpuILi7EEvPl,@function
_Z7dfs_gpuILi7EEvPl:                    ; @_Z7dfs_gpuILi7EEvPl
; %bb.0:
	s_load_dwordx2 s[2:3], s[4:5], 0x0
	v_mov_b32_e32 v3, 0x750
	v_mul_u32_u24_e32 v2, 60, v0
	v_lshl_add_u32 v14, v0, 3, v3
	v_mov_b32_e32 v3, 0x7f
	ds_write_b32 v2, v3 offset:1632
	v_mov_b32_e32 v3, 0
	v_mul_u32_u24_e32 v1, 0xf0, v0
	v_mov_b32_e32 v2, v3
	v_mov_b32_e32 v4, v3
	;; [unrolled: 1-line block ×3, first 2 shown]
	v_mul_u32_u24_e32 v6, 0xa8, v0
	ds_write_b128 v1, v[2:5]
	v_mov_b32_e32 v2, 0xff00
	v_lshl_add_u32 v8, s6, 2, v0
	s_movk_i32 s16, 0xa8
	ds_write_b32 v6, v2 offset:960
	s_waitcnt lgkmcnt(0)
	s_add_u32 s17, s2, 8
	v_mov_b32_e32 v2, 0x3c0
	v_ashrrev_i32_e32 v9, 31, v8
	s_addc_u32 s18, s3, 0
	s_mov_b64 s[4:5], 0
	v_mov_b32_e32 v23, 4
	v_mad_u32_u24 v15, v0, s16, v2
	s_mov_b64 s[6:7], 0x2000
	s_mov_b64 s[8:9], 0x5f5e100
	s_mov_b32 s19, 0x1ffff
	s_movk_i32 s20, 0x3fff
	s_movk_i32 s21, 0x3ffe
	v_mov_b32_e32 v16, 1
	v_mov_b32_e32 v17, 12
	;; [unrolled: 1-line block ×3, first 2 shown]
	s_mov_b32 s22, 0x103c3ce1
	v_bfrev_b32_e32 v19, 15
	v_mov_b32_e32 v20, 7
	s_branch .LBB0_3
.LBB0_1:                                ;   in Loop: Header=BB0_3 Depth=1
	s_or_b64 exec, exec, s[0:1]
.LBB0_2:                                ;   in Loop: Header=BB0_3 Depth=1
	s_or_b64 exec, exec, s[10:11]
	v_cmp_eq_u32_e32 vcc, 0, v21
	s_or_b64 s[4:5], vcc, s[4:5]
	v_mov_b32_e32 v23, v21
	s_andn2_b64 exec, exec, s[4:5]
	s_cbranch_execz .LBB0_42
.LBB0_3:                                ; =>This Inner Loop Header: Depth=1
	v_add_u32_e32 v21, -4, v23
	v_add_u32_e32 v26, v15, v21
	ds_read_u8 v28, v26
	v_add_u32_e32 v2, v23, v15
	v_add_u32_e32 v24, -1, v2
	v_add_u32_e32 v25, -2, v2
	;; [unrolled: 1-line block ×3, first 2 shown]
	s_waitcnt lgkmcnt(0)
	v_bfe_i32 v13, v28, 0, 8
	v_lshlrev_b32_e32 v2, 4, v13
	v_add_u32_e32 v11, v1, v2
	v_lshlrev_b32_e32 v2, 2, v13
	ds_read_u8 v22, v24
	ds_read_u8 v29, v25
	ds_read_i8 v12, v27
	v_mad_u32_u24 v2, v0, 60, v2
	ds_read_b128 v[4:7], v11
	ds_read_b32 v10, v2 offset:1632
	s_waitcnt lgkmcnt(3)
	v_cmp_ne_u16_e64 s[0:1], 0, v29
	s_waitcnt lgkmcnt(2)
	v_cmp_gt_i16_e32 vcc, 0, v12
	s_waitcnt lgkmcnt(1)
	ds_write_b128 v11, v[4:7] offset:16
	s_and_saveexec_b64 s[10:11], s[0:1]
	s_xor_b64 s[10:11], exec, s[10:11]
	s_cbranch_execz .LBB0_9
; %bb.4:                                ;   in Loop: Header=BB0_3 Depth=1
	s_and_saveexec_b64 s[0:1], vcc
	s_xor_b64 s[0:1], exec, s[0:1]
	s_cbranch_execz .LBB0_6
; %bb.5:                                ;   in Loop: Header=BB0_3 Depth=1
	v_lshrrev_b64 v[12:13], v13, s[6:7]
	v_or_b32_e32 v7, v7, v13
	v_or_b32_e32 v6, v6, v12
	ds_write_b64 v11, v[6:7] offset:24
	v_add_u16_e32 v22, 1, v22
                                        ; implicit-def: $vgpr12
                                        ; implicit-def: $vgpr11
.LBB0_6:                                ;   in Loop: Header=BB0_3 Depth=1
	s_andn2_saveexec_b64 s[12:13], s[0:1]
	s_cbranch_execz .LBB0_8
; %bb.7:                                ;   in Loop: Header=BB0_3 Depth=1
	v_add_u32_sdwa v13, v14, sext(v12) dst_sel:DWORD dst_unused:UNUSED_PAD src0_sel:DWORD src1_sel:WORD_0
	v_lshlrev_b32_sdwa v12, sext(v12), v16 dst_sel:DWORD dst_unused:UNUSED_PAD src0_sel:WORD_0 src1_sel:DWORD
	s_waitcnt lgkmcnt(1)
	v_xor_b32_e32 v10, v10, v12
	v_add_co_u32_e64 v12, s[0:1], -1, v6
	ds_write_b8 v13, v28
	v_addc_co_u32_e64 v13, s[0:1], -1, v7, s[0:1]
	v_and_b32_e32 v7, v13, v7
	v_and_b32_e32 v6, v12, v6
	ds_write_b64 v11, v[6:7] offset:24
.LBB0_8:                                ;   in Loop: Header=BB0_3 Depth=1
	s_or_b64 exec, exec, s[12:13]
                                        ; implicit-def: $vgpr12
                                        ; implicit-def: $vgpr11
                                        ; implicit-def: $vgpr13
.LBB0_9:                                ;   in Loop: Header=BB0_3 Depth=1
	s_andn2_saveexec_b64 s[0:1], s[10:11]
	s_cbranch_execz .LBB0_15
; %bb.10:                               ;   in Loop: Header=BB0_3 Depth=1
	s_and_saveexec_b64 s[10:11], vcc
	s_xor_b64 s[10:11], exec, s[10:11]
	s_cbranch_execz .LBB0_12
; %bb.11:                               ;   in Loop: Header=BB0_3 Depth=1
	v_lshrrev_b64 v[12:13], v13, s[6:7]
	v_or_b32_e32 v5, v13, v5
	v_or_b32_e32 v4, v12, v4
	ds_write_b64 v11, v[4:5] offset:16
	v_add_u16_e32 v22, 1, v22
                                        ; implicit-def: $vgpr12
                                        ; implicit-def: $vgpr11
.LBB0_12:                               ;   in Loop: Header=BB0_3 Depth=1
	s_andn2_saveexec_b64 s[10:11], s[10:11]
	s_cbranch_execz .LBB0_14
; %bb.13:                               ;   in Loop: Header=BB0_3 Depth=1
	v_add_u32_sdwa v13, v14, sext(v12) dst_sel:DWORD dst_unused:UNUSED_PAD src0_sel:DWORD src1_sel:WORD_0
	v_lshlrev_b32_sdwa v12, sext(v12), v16 dst_sel:DWORD dst_unused:UNUSED_PAD src0_sel:WORD_0 src1_sel:DWORD
	s_waitcnt lgkmcnt(1)
	v_xor_b32_e32 v10, v10, v12
	v_add_co_u32_e32 v12, vcc, -1, v4
	ds_write_b8 v13, v28
	v_addc_co_u32_e32 v13, vcc, -1, v5, vcc
	v_and_b32_e32 v5, v13, v5
	v_and_b32_e32 v4, v12, v4
	ds_write_b64 v11, v[4:5] offset:16
.LBB0_14:                               ;   in Loop: Header=BB0_3 Depth=1
	s_or_b64 exec, exec, s[10:11]
.LBB0_15:                               ;   in Loop: Header=BB0_3 Depth=1
	s_or_b64 exec, exec, s[0:1]
	v_add_u32_e32 v2, 0x660, v2
	v_cmp_gt_i16_sdwa s[0:1], v28, v17 src0_sel:BYTE_0 src1_sel:DWORD
	s_mov_b64 s[12:13], 0
	s_waitcnt lgkmcnt(1)
	ds_write_b32 v2, v10 offset:4
	s_and_saveexec_b64 s[10:11], s[0:1]
	s_xor_b64 s[0:1], exec, s[10:11]
	s_cbranch_execnz .LBB0_18
; %bb.16:                               ;   in Loop: Header=BB0_3 Depth=1
	s_andn2_saveexec_b64 s[10:11], s[0:1]
	s_cbranch_execnz .LBB0_25
.LBB0_17:                               ;   in Loop: Header=BB0_3 Depth=1
	s_or_b64 exec, exec, s[10:11]
	s_and_saveexec_b64 s[10:11], s[12:13]
	s_cbranch_execz .LBB0_2
	s_branch .LBB0_28
.LBB0_18:                               ;   in Loop: Header=BB0_3 Depth=1
	v_cmp_eq_u16_sdwa s[14:15], v28, v18 src0_sel:BYTE_0 src1_sel:DWORD
	s_mov_b64 s[12:13], -1
	s_and_saveexec_b64 s[10:11], s[14:15]
	s_cbranch_execz .LBB0_24
; %bb.19:                               ;   in Loop: Header=BB0_3 Depth=1
	s_mov_b64 s[14:15], exec
	v_mbcnt_lo_u32_b32 v2, s14, 0
	v_mbcnt_hi_u32_b32 v11, s15, v2
	v_cmp_eq_u32_e32 vcc, 0, v11
                                        ; implicit-def: $vgpr12_vgpr13
	s_and_saveexec_b64 s[12:13], vcc
	s_cbranch_execz .LBB0_21
; %bb.20:                               ;   in Loop: Header=BB0_3 Depth=1
	s_bcnt1_i32_b64 s14, s[14:15]
	v_mov_b32_e32 v2, s14
	global_atomic_add_x2 v[12:13], v3, v[2:3], s[2:3] glc
.LBB0_21:                               ;   in Loop: Header=BB0_3 Depth=1
	s_or_b64 exec, exec, s[12:13]
	s_waitcnt vmcnt(0)
	v_readfirstlane_b32 s12, v13
	v_readfirstlane_b32 s13, v12
	v_mov_b32_e32 v2, s12
	v_add_co_u32_e32 v12, vcc, s13, v11
	v_addc_co_u32_e32 v13, vcc, 0, v2, vcc
	v_cmp_gt_i64_e32 vcc, s[8:9], v[12:13]
	s_and_saveexec_b64 s[12:13], vcc
	s_cbranch_execz .LBB0_23
; %bb.22:                               ;   in Loop: Header=BB0_3 Depth=1
	ds_read_b64 v[30:31], v14
	v_lshlrev_b64 v[12:13], 3, v[12:13]
	v_mov_b32_e32 v2, s18
	v_add_co_u32_e32 v12, vcc, s17, v12
	v_addc_co_u32_e32 v13, vcc, v2, v13, vcc
	s_waitcnt lgkmcnt(0)
	global_store_dwordx2 v[12:13], v[30:31], off
.LBB0_23:                               ;   in Loop: Header=BB0_3 Depth=1
	s_or_b64 exec, exec, s[12:13]
	s_xor_b64 s[12:13], exec, -1
.LBB0_24:                               ;   in Loop: Header=BB0_3 Depth=1
	s_or_b64 exec, exec, s[10:11]
	s_and_b64 s[12:13], s[12:13], exec
	s_andn2_saveexec_b64 s[10:11], s[0:1]
	s_cbranch_execz .LBB0_17
.LBB0_25:                               ;   in Loop: Header=BB0_3 Depth=1
	v_cmp_eq_u16_sdwa s[24:25], v28, v16 src0_sel:BYTE_0 src1_sel:DWORD
	s_mov_b64 s[0:1], -1
	s_and_saveexec_b64 s[14:15], s[24:25]
	s_cbranch_execz .LBB0_27
; %bb.26:                               ;   in Loop: Header=BB0_3 Depth=1
	v_sub_co_u32_e32 v2, vcc, v6, v4
	v_ashrrev_i32_e32 v11, 31, v10
	v_mad_u64_u32 v[12:13], s[0:1], v2, s19, v[10:11]
	v_subb_co_u32_e32 v29, vcc, v7, v5, vcc
	v_mov_b32_e32 v2, v13
	v_mad_u64_u32 v[30:31], s[0:1], v29, s19, v[2:3]
	s_add_u32 s0, 0x3c3dd, s22
	s_addc_u32 s1, 0, 0
	v_add_co_u32_e32 v2, vcc, s0, v19
	s_cmp_lg_u64 vcc, 0
	v_readfirstlane_b32 s23, v2
	s_addc_u32 s0, s1, 0x4000f
	s_mul_hi_u32 s24, s23, 0xffffc001
	s_mul_i32 s1, s0, 0xffffc001
	s_sub_i32 s24, s24, s23
	s_add_i32 s24, s24, s1
	s_mul_i32 s26, s23, 0xffffc001
	s_mul_hi_u32 s1, s23, s24
	s_mul_i32 s25, s23, s24
	s_mul_hi_u32 s23, s23, s26
	s_add_u32 s23, s23, s25
	s_addc_u32 s1, 0, s1
	s_mul_hi_u32 s27, s0, s26
	s_mul_i32 s26, s0, s26
	s_add_u32 s23, s23, s26
	s_mul_hi_u32 s25, s0, s24
	s_addc_u32 s1, s1, s27
	s_addc_u32 s23, s25, 0
	s_mul_i32 s24, s0, s24
	s_add_u32 s1, s1, s24
	s_addc_u32 s23, 0, s23
	v_add_co_u32_e32 v2, vcc, s1, v2
	s_cmp_lg_u64 vcc, 0
	s_addc_u32 s23, s0, s23
	v_mad_u64_u32 v[32:33], s[0:1], v12, s23, 0
	v_mul_hi_u32 v11, v12, v2
	v_add_co_u32_e32 v11, vcc, v11, v32
	v_addc_co_u32_e32 v13, vcc, 0, v33, vcc
	v_mad_u64_u32 v[34:35], s[0:1], v30, v2, 0
	v_add_co_u32_e32 v2, vcc, v11, v34
	v_mad_u64_u32 v[32:33], s[0:1], v30, s23, 0
	v_addc_co_u32_e32 v2, vcc, v13, v35, vcc
	v_addc_co_u32_e32 v11, vcc, 0, v33, vcc
	v_add_co_u32_e32 v2, vcc, v2, v32
	v_mad_u64_u32 v[32:33], s[0:1], v2, s20, 0
	v_addc_co_u32_e32 v11, vcc, 0, v11, vcc
	v_mov_b32_e32 v2, v33
	v_mad_u64_u32 v[34:35], s[0:1], v11, s20, v[2:3]
	v_sub_co_u32_e32 v2, vcc, v12, v32
	v_subb_co_u32_e32 v11, vcc, v30, v34, vcc
	v_subrev_co_u32_e32 v12, vcc, s20, v2
	v_subbrev_co_u32_e32 v13, vcc, 0, v11, vcc
	v_subrev_co_u32_e32 v29, vcc, s20, v12
	v_subbrev_co_u32_e32 v30, vcc, 0, v13, vcc
	v_cmp_lt_u32_e32 vcc, s21, v12
	v_cndmask_b32_e64 v31, 0, -1, vcc
	v_cmp_eq_u32_e32 vcc, 0, v13
	v_cndmask_b32_e32 v31, -1, v31, vcc
	v_cmp_ne_u32_e32 vcc, 0, v31
	v_cmp_lt_u32_e64 s[0:1], s21, v2
	v_cndmask_b32_e32 v13, v13, v30, vcc
	v_cndmask_b32_e64 v30, 0, -1, s[0:1]
	v_cmp_eq_u32_e64 s[0:1], 0, v11
	v_cndmask_b32_e64 v30, -1, v30, s[0:1]
	v_cmp_ne_u32_e64 s[0:1], 0, v30
	v_cndmask_b32_e64 v13, v11, v13, s[0:1]
	v_cndmask_b32_e32 v11, v12, v29, vcc
	v_cndmask_b32_e64 v12, v2, v11, s[0:1]
	v_cmp_eq_u64_e32 vcc, v[12:13], v[8:9]
	s_orn2_b64 s[0:1], vcc, exec
.LBB0_27:                               ;   in Loop: Header=BB0_3 Depth=1
	s_or_b64 exec, exec, s[14:15]
	s_andn2_b64 s[12:13], s[12:13], exec
	s_and_b64 s[0:1], s[0:1], exec
	s_or_b64 s[12:13], s[12:13], s[0:1]
	s_or_b64 exec, exec, s[10:11]
	s_and_saveexec_b64 s[10:11], s[12:13]
	s_cbranch_execz .LBB0_2
.LBB0_28:                               ;   in Loop: Header=BB0_3 Depth=1
	v_add_u16_e32 v2, 1, v28
	v_bfe_i32 v2, v2, 0, 8
	v_add_u16_e32 v11, -14, v28
	v_cmp_gt_i16_e32 vcc, 8, v2
	v_cmp_ne_u64_e64 s[0:1], 0, v[4:5]
	s_and_saveexec_b64 s[12:13], s[0:1]
	s_cbranch_execnz .LBB0_31
; %bb.29:                               ;   in Loop: Header=BB0_3 Depth=1
	s_or_b64 exec, exec, s[12:13]
	v_cmp_ne_u64_e64 s[0:1], 0, v[6:7]
	s_and_saveexec_b64 s[12:13], s[0:1]
	s_cbranch_execnz .LBB0_36
.LBB0_30:                               ;   in Loop: Header=BB0_3 Depth=1
	s_or_b64 exec, exec, s[12:13]
	v_cmp_lt_i16_sdwa s[12:13], sext(v22), v20 src0_sel:BYTE_0 src1_sel:DWORD
	s_and_saveexec_b64 s[0:1], s[12:13]
	s_cbranch_execz .LBB0_1
	s_branch .LBB0_41
.LBB0_31:                               ;   in Loop: Header=BB0_3 Depth=1
	v_ffbl_b32_e32 v5, v5
	v_add_u32_e32 v5, 32, v5
	v_ffbl_b32_e32 v4, v4
	v_min_u32_e32 v4, v4, v5
	v_add_u16_e32 v4, v11, v4
	v_cmp_lt_u16_sdwa s[0:1], v4, v20 src0_sel:BYTE_0 src1_sel:DWORD
	s_and_saveexec_b64 s[14:15], s[0:1]
	s_cbranch_execz .LBB0_35
; %bb.32:                               ;   in Loop: Header=BB0_3 Depth=1
	v_lshrrev_b32_e32 v5, v4, v10
	v_and_b32_e32 v5, 1, v5
	v_cmp_ne_u16_sdwa s[24:25], v4, v3 src0_sel:BYTE_0 src1_sel:DWORD
	v_cmp_eq_u32_e64 s[0:1], 1, v5
	s_or_b64 s[24:25], vcc, s[24:25]
	s_and_b64 s[24:25], s[24:25], s[0:1]
	s_and_saveexec_b64 s[0:1], s[24:25]
	s_cbranch_execz .LBB0_34
; %bb.33:                               ;   in Loop: Header=BB0_3 Depth=1
	v_mov_b32_e32 v21, v23
	ds_write_b8 v26, v2
	ds_write_b8 v27, v4
	ds_write_b8 v25, v3
	ds_write_b8 v24, v22
.LBB0_34:                               ;   in Loop: Header=BB0_3 Depth=1
	s_or_b64 exec, exec, s[0:1]
.LBB0_35:                               ;   in Loop: Header=BB0_3 Depth=1
	s_or_b64 exec, exec, s[14:15]
	s_or_b64 exec, exec, s[12:13]
	v_cmp_ne_u64_e64 s[0:1], 0, v[6:7]
	s_and_saveexec_b64 s[12:13], s[0:1]
	s_cbranch_execz .LBB0_30
.LBB0_36:                               ;   in Loop: Header=BB0_3 Depth=1
	v_ffbl_b32_e32 v4, v7
	v_add_u32_e32 v4, 32, v4
	v_ffbl_b32_e32 v5, v6
	v_min_u32_e32 v4, v5, v4
	v_add_u16_e32 v4, v11, v4
	v_cmp_lt_u16_sdwa s[0:1], v4, v20 src0_sel:BYTE_0 src1_sel:DWORD
	s_and_saveexec_b64 s[14:15], s[0:1]
	s_cbranch_execz .LBB0_40
; %bb.37:                               ;   in Loop: Header=BB0_3 Depth=1
	v_lshrrev_b32_e32 v5, v4, v10
	v_and_b32_e32 v5, 1, v5
	v_cmp_ne_u16_sdwa s[24:25], v4, v3 src0_sel:BYTE_0 src1_sel:DWORD
	v_cmp_eq_u32_e64 s[0:1], 1, v5
	s_or_b64 s[24:25], vcc, s[24:25]
	s_and_b64 s[24:25], s[24:25], s[0:1]
	s_and_saveexec_b64 s[0:1], s[24:25]
	s_cbranch_execz .LBB0_39
; %bb.38:                               ;   in Loop: Header=BB0_3 Depth=1
	v_mad_u32_u24 v5, v0, s16, v21
	v_add_u32_e32 v21, 4, v21
	ds_write_b8 v5, v2 offset:960
	ds_write_b8 v5, v4 offset:961
	;; [unrolled: 1-line block ×4, first 2 shown]
.LBB0_39:                               ;   in Loop: Header=BB0_3 Depth=1
	s_or_b64 exec, exec, s[0:1]
.LBB0_40:                               ;   in Loop: Header=BB0_3 Depth=1
	s_or_b64 exec, exec, s[14:15]
	s_or_b64 exec, exec, s[12:13]
	v_cmp_lt_i16_sdwa s[12:13], sext(v22), v20 src0_sel:BYTE_0 src1_sel:DWORD
	s_and_saveexec_b64 s[0:1], s[12:13]
	s_cbranch_execz .LBB0_1
.LBB0_41:                               ;   in Loop: Header=BB0_3 Depth=1
	v_or_b32_e32 v2, 0xffffff00, v2
	v_lshlrev_b16_e32 v4, 8, v22
	v_and_b32_e32 v2, 0xffff, v2
	v_or_b32_sdwa v4, v4, v16 dst_sel:WORD_1 dst_unused:UNUSED_PAD src0_sel:DWORD src1_sel:DWORD
	v_mad_u32_u24 v6, v0, s16, v21
	v_add_u32_e32 v21, 8, v21
	v_or_b32_e32 v4, v2, v4
	v_lshl_or_b32 v5, v22, 24, v2
	ds_write_b64 v6, v[4:5] offset:960
	s_branch .LBB0_1
.LBB0_42:
	s_endpgm
	.section	.rodata,"a",@progbits
	.p2align	6, 0x0
	.amdhsa_kernel _Z7dfs_gpuILi7EEvPl
		.amdhsa_group_segment_fixed_size 1904
		.amdhsa_private_segment_fixed_size 0
		.amdhsa_kernarg_size 8
		.amdhsa_user_sgpr_count 6
		.amdhsa_user_sgpr_private_segment_buffer 1
		.amdhsa_user_sgpr_dispatch_ptr 0
		.amdhsa_user_sgpr_queue_ptr 0
		.amdhsa_user_sgpr_kernarg_segment_ptr 1
		.amdhsa_user_sgpr_dispatch_id 0
		.amdhsa_user_sgpr_flat_scratch_init 0
		.amdhsa_user_sgpr_kernarg_preload_length 0
		.amdhsa_user_sgpr_kernarg_preload_offset 0
		.amdhsa_user_sgpr_private_segment_size 0
		.amdhsa_uses_dynamic_stack 0
		.amdhsa_system_sgpr_private_segment_wavefront_offset 0
		.amdhsa_system_sgpr_workgroup_id_x 1
		.amdhsa_system_sgpr_workgroup_id_y 0
		.amdhsa_system_sgpr_workgroup_id_z 0
		.amdhsa_system_sgpr_workgroup_info 0
		.amdhsa_system_vgpr_workitem_id 0
		.amdhsa_next_free_vgpr 36
		.amdhsa_next_free_sgpr 28
		.amdhsa_accum_offset 36
		.amdhsa_reserve_vcc 1
		.amdhsa_reserve_flat_scratch 0
		.amdhsa_float_round_mode_32 0
		.amdhsa_float_round_mode_16_64 0
		.amdhsa_float_denorm_mode_32 3
		.amdhsa_float_denorm_mode_16_64 3
		.amdhsa_dx10_clamp 1
		.amdhsa_ieee_mode 1
		.amdhsa_fp16_overflow 0
		.amdhsa_tg_split 0
		.amdhsa_exception_fp_ieee_invalid_op 0
		.amdhsa_exception_fp_denorm_src 0
		.amdhsa_exception_fp_ieee_div_zero 0
		.amdhsa_exception_fp_ieee_overflow 0
		.amdhsa_exception_fp_ieee_underflow 0
		.amdhsa_exception_fp_ieee_inexact 0
		.amdhsa_exception_int_div_zero 0
	.end_amdhsa_kernel
	.section	.text._Z7dfs_gpuILi7EEvPl,"axG",@progbits,_Z7dfs_gpuILi7EEvPl,comdat
.Lfunc_end0:
	.size	_Z7dfs_gpuILi7EEvPl, .Lfunc_end0-_Z7dfs_gpuILi7EEvPl
                                        ; -- End function
	.section	.AMDGPU.csdata,"",@progbits
; Kernel info:
; codeLenInByte = 1716
; NumSgprs: 32
; NumVgprs: 36
; NumAgprs: 0
; TotalNumVgprs: 36
; ScratchSize: 0
; MemoryBound: 0
; FloatMode: 240
; IeeeMode: 1
; LDSByteSize: 1904 bytes/workgroup (compile time only)
; SGPRBlocks: 3
; VGPRBlocks: 4
; NumSGPRsForWavesPerEU: 32
; NumVGPRsForWavesPerEU: 36
; AccumOffset: 36
; Occupancy: 8
; WaveLimiterHint : 0
; COMPUTE_PGM_RSRC2:SCRATCH_EN: 0
; COMPUTE_PGM_RSRC2:USER_SGPR: 6
; COMPUTE_PGM_RSRC2:TRAP_HANDLER: 0
; COMPUTE_PGM_RSRC2:TGID_X_EN: 1
; COMPUTE_PGM_RSRC2:TGID_Y_EN: 0
; COMPUTE_PGM_RSRC2:TGID_Z_EN: 0
; COMPUTE_PGM_RSRC2:TIDIG_COMP_CNT: 0
; COMPUTE_PGM_RSRC3_GFX90A:ACCUM_OFFSET: 8
; COMPUTE_PGM_RSRC3_GFX90A:TG_SPLIT: 0
	.section	.text._Z7dfs_gpuILi8EEvPl,"axG",@progbits,_Z7dfs_gpuILi8EEvPl,comdat
	.protected	_Z7dfs_gpuILi8EEvPl     ; -- Begin function _Z7dfs_gpuILi8EEvPl
	.globl	_Z7dfs_gpuILi8EEvPl
	.p2align	8
	.type	_Z7dfs_gpuILi8EEvPl,@function
_Z7dfs_gpuILi8EEvPl:                    ; @_Z7dfs_gpuILi8EEvPl
; %bb.0:
	s_load_dwordx2 s[2:3], s[4:5], 0x0
	v_mov_b32_e32 v3, 0x850
	v_mul_u32_u24_e32 v2, 0x44, v0
	v_lshl_add_u32 v14, v0, 3, v3
	v_mov_b32_e32 v3, 0xff
	ds_write_b32 v2, v3 offset:1856
	v_mov_b32_e32 v3, 0
	v_mul_u32_u24_e32 v1, 0x110, v0
	v_mov_b32_e32 v2, v3
	v_mov_b32_e32 v4, v3
	;; [unrolled: 1-line block ×3, first 2 shown]
	v_mul_u32_u24_e32 v6, 0xc0, v0
	ds_write_b128 v1, v[2:5]
	v_mov_b32_e32 v2, 0xff00
	v_lshl_add_u32 v8, s6, 2, v0
	s_movk_i32 s17, 0xc0
	ds_write_b32 v6, v2 offset:1088
	s_waitcnt lgkmcnt(0)
	s_add_u32 s18, s2, 8
	v_mov_b32_e32 v2, 0x440
	s_movk_i32 s16, 0x44
	v_ashrrev_i32_e32 v9, 31, v8
	s_addc_u32 s19, s3, 0
	s_mov_b64 s[4:5], 0
	v_mov_b32_e32 v24, 4
	v_mad_u32_u24 v15, v0, s17, v2
	s_mov_b64 s[6:7], 0x8000
	s_mov_b64 s[8:9], 0x5f5e100
	s_mov_b32 s20, 0x1ffff
	s_movk_i32 s21, 0x3fff
	s_movk_i32 s22, 0x3ffe
	v_mov_b32_e32 v16, 1
	v_mov_b32_e32 v17, 14
	;; [unrolled: 1-line block ×4, first 2 shown]
	s_mov_b32 s23, 0x103c3ce1
	v_bfrev_b32_e32 v20, 15
	v_mov_b32_e32 v21, 8
	s_branch .LBB1_3
.LBB1_1:                                ;   in Loop: Header=BB1_3 Depth=1
	s_or_b64 exec, exec, s[0:1]
.LBB1_2:                                ;   in Loop: Header=BB1_3 Depth=1
	s_or_b64 exec, exec, s[10:11]
	v_cmp_eq_u32_e32 vcc, 0, v22
	s_or_b64 s[4:5], vcc, s[4:5]
	v_mov_b32_e32 v24, v22
	s_andn2_b64 exec, exec, s[4:5]
	s_cbranch_execz .LBB1_42
.LBB1_3:                                ; =>This Inner Loop Header: Depth=1
	v_add_u32_e32 v22, -4, v24
	v_add_u32_e32 v27, v15, v22
	ds_read_u8 v29, v27
	v_add_u32_e32 v2, v24, v15
	v_add_u32_e32 v25, -1, v2
	v_add_u32_e32 v26, -2, v2
	;; [unrolled: 1-line block ×3, first 2 shown]
	s_waitcnt lgkmcnt(0)
	v_bfe_i32 v13, v29, 0, 8
	v_lshlrev_b32_e32 v2, 4, v13
	v_add_u32_e32 v11, v1, v2
	v_lshlrev_b32_e32 v2, 2, v13
	ds_read_u8 v23, v25
	ds_read_u8 v30, v26
	ds_read_i8 v12, v28
	v_mad_u32_u24 v2, v0, s16, v2
	ds_read_b128 v[4:7], v11
	ds_read_b32 v10, v2 offset:1856
	s_waitcnt lgkmcnt(3)
	v_cmp_ne_u16_e64 s[0:1], 0, v30
	s_waitcnt lgkmcnt(2)
	v_cmp_gt_i16_e32 vcc, 0, v12
	s_waitcnt lgkmcnt(1)
	ds_write_b128 v11, v[4:7] offset:16
	s_and_saveexec_b64 s[10:11], s[0:1]
	s_xor_b64 s[10:11], exec, s[10:11]
	s_cbranch_execz .LBB1_9
; %bb.4:                                ;   in Loop: Header=BB1_3 Depth=1
	s_and_saveexec_b64 s[0:1], vcc
	s_xor_b64 s[0:1], exec, s[0:1]
	s_cbranch_execz .LBB1_6
; %bb.5:                                ;   in Loop: Header=BB1_3 Depth=1
	v_lshrrev_b64 v[12:13], v13, s[6:7]
	v_or_b32_e32 v7, v7, v13
	v_or_b32_e32 v6, v6, v12
	ds_write_b64 v11, v[6:7] offset:24
	v_add_u16_e32 v23, 1, v23
                                        ; implicit-def: $vgpr12
                                        ; implicit-def: $vgpr11
.LBB1_6:                                ;   in Loop: Header=BB1_3 Depth=1
	s_andn2_saveexec_b64 s[12:13], s[0:1]
	s_cbranch_execz .LBB1_8
; %bb.7:                                ;   in Loop: Header=BB1_3 Depth=1
	v_add_u32_sdwa v13, v14, sext(v12) dst_sel:DWORD dst_unused:UNUSED_PAD src0_sel:DWORD src1_sel:WORD_0
	v_lshlrev_b32_sdwa v12, sext(v12), v16 dst_sel:DWORD dst_unused:UNUSED_PAD src0_sel:WORD_0 src1_sel:DWORD
	s_waitcnt lgkmcnt(1)
	v_xor_b32_e32 v10, v10, v12
	v_add_co_u32_e64 v12, s[0:1], -1, v6
	ds_write_b8 v13, v29
	v_addc_co_u32_e64 v13, s[0:1], -1, v7, s[0:1]
	v_and_b32_e32 v7, v13, v7
	v_and_b32_e32 v6, v12, v6
	ds_write_b64 v11, v[6:7] offset:24
.LBB1_8:                                ;   in Loop: Header=BB1_3 Depth=1
	s_or_b64 exec, exec, s[12:13]
                                        ; implicit-def: $vgpr12
                                        ; implicit-def: $vgpr11
                                        ; implicit-def: $vgpr13
.LBB1_9:                                ;   in Loop: Header=BB1_3 Depth=1
	s_andn2_saveexec_b64 s[0:1], s[10:11]
	s_cbranch_execz .LBB1_15
; %bb.10:                               ;   in Loop: Header=BB1_3 Depth=1
	s_and_saveexec_b64 s[10:11], vcc
	s_xor_b64 s[10:11], exec, s[10:11]
	s_cbranch_execz .LBB1_12
; %bb.11:                               ;   in Loop: Header=BB1_3 Depth=1
	v_lshrrev_b64 v[12:13], v13, s[6:7]
	v_or_b32_e32 v5, v13, v5
	v_or_b32_e32 v4, v12, v4
	ds_write_b64 v11, v[4:5] offset:16
	v_add_u16_e32 v23, 1, v23
                                        ; implicit-def: $vgpr12
                                        ; implicit-def: $vgpr11
.LBB1_12:                               ;   in Loop: Header=BB1_3 Depth=1
	s_andn2_saveexec_b64 s[10:11], s[10:11]
	s_cbranch_execz .LBB1_14
; %bb.13:                               ;   in Loop: Header=BB1_3 Depth=1
	v_add_u32_sdwa v13, v14, sext(v12) dst_sel:DWORD dst_unused:UNUSED_PAD src0_sel:DWORD src1_sel:WORD_0
	v_lshlrev_b32_sdwa v12, sext(v12), v16 dst_sel:DWORD dst_unused:UNUSED_PAD src0_sel:WORD_0 src1_sel:DWORD
	s_waitcnt lgkmcnt(1)
	v_xor_b32_e32 v10, v10, v12
	v_add_co_u32_e32 v12, vcc, -1, v4
	ds_write_b8 v13, v29
	v_addc_co_u32_e32 v13, vcc, -1, v5, vcc
	v_and_b32_e32 v5, v13, v5
	v_and_b32_e32 v4, v12, v4
	ds_write_b64 v11, v[4:5] offset:16
.LBB1_14:                               ;   in Loop: Header=BB1_3 Depth=1
	s_or_b64 exec, exec, s[10:11]
.LBB1_15:                               ;   in Loop: Header=BB1_3 Depth=1
	s_or_b64 exec, exec, s[0:1]
	v_add_u32_e32 v2, 0x740, v2
	v_cmp_gt_i16_sdwa s[0:1], v29, v17 src0_sel:BYTE_0 src1_sel:DWORD
	s_mov_b64 s[12:13], 0
	s_waitcnt lgkmcnt(1)
	ds_write_b32 v2, v10 offset:4
	s_and_saveexec_b64 s[10:11], s[0:1]
	s_xor_b64 s[0:1], exec, s[10:11]
	s_cbranch_execnz .LBB1_18
; %bb.16:                               ;   in Loop: Header=BB1_3 Depth=1
	s_andn2_saveexec_b64 s[10:11], s[0:1]
	s_cbranch_execnz .LBB1_25
.LBB1_17:                               ;   in Loop: Header=BB1_3 Depth=1
	s_or_b64 exec, exec, s[10:11]
	s_and_saveexec_b64 s[10:11], s[12:13]
	s_cbranch_execz .LBB1_2
	s_branch .LBB1_28
.LBB1_18:                               ;   in Loop: Header=BB1_3 Depth=1
	v_cmp_eq_u16_sdwa s[14:15], v29, v18 src0_sel:BYTE_0 src1_sel:DWORD
	s_mov_b64 s[12:13], -1
	s_and_saveexec_b64 s[10:11], s[14:15]
	s_cbranch_execz .LBB1_24
; %bb.19:                               ;   in Loop: Header=BB1_3 Depth=1
	s_mov_b64 s[14:15], exec
	v_mbcnt_lo_u32_b32 v2, s14, 0
	v_mbcnt_hi_u32_b32 v11, s15, v2
	v_cmp_eq_u32_e32 vcc, 0, v11
                                        ; implicit-def: $vgpr12_vgpr13
	s_and_saveexec_b64 s[12:13], vcc
	s_cbranch_execz .LBB1_21
; %bb.20:                               ;   in Loop: Header=BB1_3 Depth=1
	s_bcnt1_i32_b64 s14, s[14:15]
	v_mov_b32_e32 v2, s14
	global_atomic_add_x2 v[12:13], v3, v[2:3], s[2:3] glc
.LBB1_21:                               ;   in Loop: Header=BB1_3 Depth=1
	s_or_b64 exec, exec, s[12:13]
	s_waitcnt vmcnt(0)
	v_readfirstlane_b32 s12, v13
	v_readfirstlane_b32 s13, v12
	v_mov_b32_e32 v2, s12
	v_add_co_u32_e32 v12, vcc, s13, v11
	v_addc_co_u32_e32 v13, vcc, 0, v2, vcc
	v_cmp_gt_i64_e32 vcc, s[8:9], v[12:13]
	s_and_saveexec_b64 s[12:13], vcc
	s_cbranch_execz .LBB1_23
; %bb.22:                               ;   in Loop: Header=BB1_3 Depth=1
	ds_read_b64 v[30:31], v14
	v_lshlrev_b64 v[12:13], 3, v[12:13]
	v_mov_b32_e32 v2, s19
	v_add_co_u32_e32 v12, vcc, s18, v12
	v_addc_co_u32_e32 v13, vcc, v2, v13, vcc
	s_waitcnt lgkmcnt(0)
	global_store_dwordx2 v[12:13], v[30:31], off
.LBB1_23:                               ;   in Loop: Header=BB1_3 Depth=1
	s_or_b64 exec, exec, s[12:13]
	s_xor_b64 s[12:13], exec, -1
.LBB1_24:                               ;   in Loop: Header=BB1_3 Depth=1
	s_or_b64 exec, exec, s[10:11]
	s_and_b64 s[12:13], s[12:13], exec
	s_andn2_saveexec_b64 s[10:11], s[0:1]
	s_cbranch_execz .LBB1_17
.LBB1_25:                               ;   in Loop: Header=BB1_3 Depth=1
	v_cmp_eq_u16_sdwa s[24:25], v29, v19 src0_sel:BYTE_0 src1_sel:DWORD
	s_mov_b64 s[0:1], -1
	s_and_saveexec_b64 s[14:15], s[24:25]
	s_cbranch_execz .LBB1_27
; %bb.26:                               ;   in Loop: Header=BB1_3 Depth=1
	v_sub_co_u32_e32 v2, vcc, v6, v4
	v_ashrrev_i32_e32 v11, 31, v10
	v_mad_u64_u32 v[12:13], s[0:1], v2, s20, v[10:11]
	v_subb_co_u32_e32 v30, vcc, v7, v5, vcc
	v_mov_b32_e32 v2, v13
	v_mad_u64_u32 v[30:31], s[0:1], v30, s20, v[2:3]
	s_add_u32 s0, 0x3c3dd, s23
	s_addc_u32 s1, 0, 0
	v_add_co_u32_e32 v2, vcc, s0, v20
	s_cmp_lg_u64 vcc, 0
	v_readfirstlane_b32 s24, v2
	s_addc_u32 s0, s1, 0x4000f
	s_mul_hi_u32 s25, s24, 0xffffc001
	s_mul_i32 s1, s0, 0xffffc001
	s_sub_i32 s25, s25, s24
	s_add_i32 s25, s25, s1
	s_mul_i32 s27, s24, 0xffffc001
	s_mul_hi_u32 s1, s24, s25
	s_mul_i32 s26, s24, s25
	s_mul_hi_u32 s24, s24, s27
	s_add_u32 s24, s24, s26
	s_addc_u32 s1, 0, s1
	s_mul_hi_u32 s28, s0, s27
	s_mul_i32 s27, s0, s27
	s_add_u32 s24, s24, s27
	s_mul_hi_u32 s26, s0, s25
	s_addc_u32 s1, s1, s28
	s_addc_u32 s24, s26, 0
	s_mul_i32 s25, s0, s25
	s_add_u32 s1, s1, s25
	s_addc_u32 s24, 0, s24
	v_add_co_u32_e32 v2, vcc, s1, v2
	s_cmp_lg_u64 vcc, 0
	s_addc_u32 s24, s0, s24
	v_mad_u64_u32 v[32:33], s[0:1], v12, s24, 0
	v_mul_hi_u32 v11, v12, v2
	v_add_co_u32_e32 v11, vcc, v11, v32
	v_addc_co_u32_e32 v13, vcc, 0, v33, vcc
	v_mad_u64_u32 v[34:35], s[0:1], v30, v2, 0
	v_add_co_u32_e32 v2, vcc, v11, v34
	v_mad_u64_u32 v[32:33], s[0:1], v30, s24, 0
	v_addc_co_u32_e32 v2, vcc, v13, v35, vcc
	v_addc_co_u32_e32 v11, vcc, 0, v33, vcc
	v_add_co_u32_e32 v2, vcc, v2, v32
	v_mad_u64_u32 v[32:33], s[0:1], v2, s21, 0
	v_addc_co_u32_e32 v11, vcc, 0, v11, vcc
	v_mov_b32_e32 v2, v33
	v_mad_u64_u32 v[34:35], s[0:1], v11, s21, v[2:3]
	v_sub_co_u32_e32 v2, vcc, v12, v32
	v_subb_co_u32_e32 v11, vcc, v30, v34, vcc
	v_subrev_co_u32_e32 v12, vcc, s21, v2
	v_subbrev_co_u32_e32 v13, vcc, 0, v11, vcc
	v_subrev_co_u32_e32 v30, vcc, s21, v12
	v_subbrev_co_u32_e32 v31, vcc, 0, v13, vcc
	v_cmp_lt_u32_e32 vcc, s22, v12
	v_cndmask_b32_e64 v32, 0, -1, vcc
	v_cmp_eq_u32_e32 vcc, 0, v13
	v_cndmask_b32_e32 v32, -1, v32, vcc
	v_cmp_ne_u32_e32 vcc, 0, v32
	v_cmp_lt_u32_e64 s[0:1], s22, v2
	v_cndmask_b32_e32 v13, v13, v31, vcc
	v_cndmask_b32_e64 v31, 0, -1, s[0:1]
	v_cmp_eq_u32_e64 s[0:1], 0, v11
	v_cndmask_b32_e64 v31, -1, v31, s[0:1]
	v_cmp_ne_u32_e64 s[0:1], 0, v31
	v_cndmask_b32_e64 v13, v11, v13, s[0:1]
	v_cndmask_b32_e32 v11, v12, v30, vcc
	v_cndmask_b32_e64 v12, v2, v11, s[0:1]
	v_cmp_eq_u64_e32 vcc, v[12:13], v[8:9]
	s_orn2_b64 s[0:1], vcc, exec
.LBB1_27:                               ;   in Loop: Header=BB1_3 Depth=1
	s_or_b64 exec, exec, s[14:15]
	s_andn2_b64 s[12:13], s[12:13], exec
	s_and_b64 s[0:1], s[0:1], exec
	s_or_b64 s[12:13], s[12:13], s[0:1]
	s_or_b64 exec, exec, s[10:11]
	s_and_saveexec_b64 s[10:11], s[12:13]
	s_cbranch_execz .LBB1_2
.LBB1_28:                               ;   in Loop: Header=BB1_3 Depth=1
	v_add_u16_e32 v2, 1, v29
	v_bfe_i32 v2, v2, 0, 8
	v_add_u16_e32 v11, -16, v29
	v_cmp_gt_i16_e32 vcc, 9, v2
	v_cmp_ne_u64_e64 s[0:1], 0, v[4:5]
	s_and_saveexec_b64 s[12:13], s[0:1]
	s_cbranch_execnz .LBB1_31
; %bb.29:                               ;   in Loop: Header=BB1_3 Depth=1
	s_or_b64 exec, exec, s[12:13]
	v_cmp_ne_u64_e64 s[0:1], 0, v[6:7]
	s_and_saveexec_b64 s[12:13], s[0:1]
	s_cbranch_execnz .LBB1_36
.LBB1_30:                               ;   in Loop: Header=BB1_3 Depth=1
	s_or_b64 exec, exec, s[12:13]
	v_cmp_lt_i16_sdwa s[12:13], sext(v23), v21 src0_sel:BYTE_0 src1_sel:DWORD
	s_and_saveexec_b64 s[0:1], s[12:13]
	s_cbranch_execz .LBB1_1
	s_branch .LBB1_41
.LBB1_31:                               ;   in Loop: Header=BB1_3 Depth=1
	v_ffbl_b32_e32 v5, v5
	v_add_u32_e32 v5, 32, v5
	v_ffbl_b32_e32 v4, v4
	v_min_u32_e32 v4, v4, v5
	v_add_u16_e32 v4, v11, v4
	v_cmp_lt_u16_sdwa s[0:1], v4, v21 src0_sel:BYTE_0 src1_sel:DWORD
	s_and_saveexec_b64 s[14:15], s[0:1]
	s_cbranch_execz .LBB1_35
; %bb.32:                               ;   in Loop: Header=BB1_3 Depth=1
	v_lshrrev_b32_e32 v5, v4, v10
	v_and_b32_e32 v5, 1, v5
	v_cmp_ne_u16_sdwa s[24:25], v4, v3 src0_sel:BYTE_0 src1_sel:DWORD
	v_cmp_eq_u32_e64 s[0:1], 1, v5
	s_or_b64 s[24:25], vcc, s[24:25]
	s_and_b64 s[24:25], s[24:25], s[0:1]
	s_and_saveexec_b64 s[0:1], s[24:25]
	s_cbranch_execz .LBB1_34
; %bb.33:                               ;   in Loop: Header=BB1_3 Depth=1
	v_mov_b32_e32 v22, v24
	ds_write_b8 v27, v2
	ds_write_b8 v28, v4
	;; [unrolled: 1-line block ×4, first 2 shown]
.LBB1_34:                               ;   in Loop: Header=BB1_3 Depth=1
	s_or_b64 exec, exec, s[0:1]
.LBB1_35:                               ;   in Loop: Header=BB1_3 Depth=1
	s_or_b64 exec, exec, s[14:15]
	s_or_b64 exec, exec, s[12:13]
	v_cmp_ne_u64_e64 s[0:1], 0, v[6:7]
	s_and_saveexec_b64 s[12:13], s[0:1]
	s_cbranch_execz .LBB1_30
.LBB1_36:                               ;   in Loop: Header=BB1_3 Depth=1
	v_ffbl_b32_e32 v4, v7
	v_add_u32_e32 v4, 32, v4
	v_ffbl_b32_e32 v5, v6
	v_min_u32_e32 v4, v5, v4
	v_add_u16_e32 v4, v11, v4
	v_cmp_lt_u16_sdwa s[0:1], v4, v21 src0_sel:BYTE_0 src1_sel:DWORD
	s_and_saveexec_b64 s[14:15], s[0:1]
	s_cbranch_execz .LBB1_40
; %bb.37:                               ;   in Loop: Header=BB1_3 Depth=1
	v_lshrrev_b32_e32 v5, v4, v10
	v_and_b32_e32 v5, 1, v5
	v_cmp_ne_u16_sdwa s[24:25], v4, v3 src0_sel:BYTE_0 src1_sel:DWORD
	v_cmp_eq_u32_e64 s[0:1], 1, v5
	s_or_b64 s[24:25], vcc, s[24:25]
	s_and_b64 s[24:25], s[24:25], s[0:1]
	s_and_saveexec_b64 s[0:1], s[24:25]
	s_cbranch_execz .LBB1_39
; %bb.38:                               ;   in Loop: Header=BB1_3 Depth=1
	v_mad_u32_u24 v5, v0, s17, v22
	v_add_u32_e32 v22, 4, v22
	ds_write_b8 v5, v2 offset:1088
	ds_write_b8 v5, v4 offset:1089
	;; [unrolled: 1-line block ×4, first 2 shown]
.LBB1_39:                               ;   in Loop: Header=BB1_3 Depth=1
	s_or_b64 exec, exec, s[0:1]
.LBB1_40:                               ;   in Loop: Header=BB1_3 Depth=1
	s_or_b64 exec, exec, s[14:15]
	s_or_b64 exec, exec, s[12:13]
	v_cmp_lt_i16_sdwa s[12:13], sext(v23), v21 src0_sel:BYTE_0 src1_sel:DWORD
	s_and_saveexec_b64 s[0:1], s[12:13]
	s_cbranch_execz .LBB1_1
.LBB1_41:                               ;   in Loop: Header=BB1_3 Depth=1
	v_or_b32_e32 v2, 0xffffff00, v2
	v_lshlrev_b16_e32 v4, 8, v23
	v_and_b32_e32 v2, 0xffff, v2
	v_or_b32_sdwa v4, v4, v16 dst_sel:WORD_1 dst_unused:UNUSED_PAD src0_sel:DWORD src1_sel:DWORD
	v_mad_u32_u24 v6, v0, s17, v22
	v_add_u32_e32 v22, 8, v22
	v_or_b32_e32 v4, v2, v4
	v_lshl_or_b32 v5, v23, 24, v2
	ds_write_b64 v6, v[4:5] offset:1088
	s_branch .LBB1_1
.LBB1_42:
	s_endpgm
	.section	.rodata,"a",@progbits
	.p2align	6, 0x0
	.amdhsa_kernel _Z7dfs_gpuILi8EEvPl
		.amdhsa_group_segment_fixed_size 2160
		.amdhsa_private_segment_fixed_size 0
		.amdhsa_kernarg_size 8
		.amdhsa_user_sgpr_count 6
		.amdhsa_user_sgpr_private_segment_buffer 1
		.amdhsa_user_sgpr_dispatch_ptr 0
		.amdhsa_user_sgpr_queue_ptr 0
		.amdhsa_user_sgpr_kernarg_segment_ptr 1
		.amdhsa_user_sgpr_dispatch_id 0
		.amdhsa_user_sgpr_flat_scratch_init 0
		.amdhsa_user_sgpr_kernarg_preload_length 0
		.amdhsa_user_sgpr_kernarg_preload_offset 0
		.amdhsa_user_sgpr_private_segment_size 0
		.amdhsa_uses_dynamic_stack 0
		.amdhsa_system_sgpr_private_segment_wavefront_offset 0
		.amdhsa_system_sgpr_workgroup_id_x 1
		.amdhsa_system_sgpr_workgroup_id_y 0
		.amdhsa_system_sgpr_workgroup_id_z 0
		.amdhsa_system_sgpr_workgroup_info 0
		.amdhsa_system_vgpr_workitem_id 0
		.amdhsa_next_free_vgpr 36
		.amdhsa_next_free_sgpr 29
		.amdhsa_accum_offset 36
		.amdhsa_reserve_vcc 1
		.amdhsa_reserve_flat_scratch 0
		.amdhsa_float_round_mode_32 0
		.amdhsa_float_round_mode_16_64 0
		.amdhsa_float_denorm_mode_32 3
		.amdhsa_float_denorm_mode_16_64 3
		.amdhsa_dx10_clamp 1
		.amdhsa_ieee_mode 1
		.amdhsa_fp16_overflow 0
		.amdhsa_tg_split 0
		.amdhsa_exception_fp_ieee_invalid_op 0
		.amdhsa_exception_fp_denorm_src 0
		.amdhsa_exception_fp_ieee_div_zero 0
		.amdhsa_exception_fp_ieee_overflow 0
		.amdhsa_exception_fp_ieee_underflow 0
		.amdhsa_exception_fp_ieee_inexact 0
		.amdhsa_exception_int_div_zero 0
	.end_amdhsa_kernel
	.section	.text._Z7dfs_gpuILi8EEvPl,"axG",@progbits,_Z7dfs_gpuILi8EEvPl,comdat
.Lfunc_end1:
	.size	_Z7dfs_gpuILi8EEvPl, .Lfunc_end1-_Z7dfs_gpuILi8EEvPl
                                        ; -- End function
	.section	.AMDGPU.csdata,"",@progbits
; Kernel info:
; codeLenInByte = 1728
; NumSgprs: 33
; NumVgprs: 36
; NumAgprs: 0
; TotalNumVgprs: 36
; ScratchSize: 0
; MemoryBound: 0
; FloatMode: 240
; IeeeMode: 1
; LDSByteSize: 2160 bytes/workgroup (compile time only)
; SGPRBlocks: 4
; VGPRBlocks: 4
; NumSGPRsForWavesPerEU: 33
; NumVGPRsForWavesPerEU: 36
; AccumOffset: 36
; Occupancy: 8
; WaveLimiterHint : 0
; COMPUTE_PGM_RSRC2:SCRATCH_EN: 0
; COMPUTE_PGM_RSRC2:USER_SGPR: 6
; COMPUTE_PGM_RSRC2:TRAP_HANDLER: 0
; COMPUTE_PGM_RSRC2:TGID_X_EN: 1
; COMPUTE_PGM_RSRC2:TGID_Y_EN: 0
; COMPUTE_PGM_RSRC2:TGID_Z_EN: 0
; COMPUTE_PGM_RSRC2:TIDIG_COMP_CNT: 0
; COMPUTE_PGM_RSRC3_GFX90A:ACCUM_OFFSET: 8
; COMPUTE_PGM_RSRC3_GFX90A:TG_SPLIT: 0
	.section	.text._Z7dfs_gpuILi11EEvPl,"axG",@progbits,_Z7dfs_gpuILi11EEvPl,comdat
	.protected	_Z7dfs_gpuILi11EEvPl    ; -- Begin function _Z7dfs_gpuILi11EEvPl
	.globl	_Z7dfs_gpuILi11EEvPl
	.p2align	8
	.type	_Z7dfs_gpuILi11EEvPl,@function
_Z7dfs_gpuILi11EEvPl:                   ; @_Z7dfs_gpuILi11EEvPl
; %bb.0:
	s_load_dwordx2 s[2:3], s[4:5], 0x0
	v_mov_b32_e32 v3, 0xb50
	v_mul_u32_u24_e32 v2, 0x5c, v0
	v_lshl_add_u32 v14, v0, 4, v3
	v_mov_b32_e32 v3, 0x7ff
	ds_write_b32 v2, v3 offset:2528
	v_mov_b32_e32 v3, 0
	v_mul_u32_u24_e32 v1, 0x170, v0
	v_mov_b32_e32 v2, v3
	v_mov_b32_e32 v4, v3
	;; [unrolled: 1-line block ×3, first 2 shown]
	v_mul_u32_u24_e32 v6, 0x108, v0
	ds_write_b128 v1, v[2:5]
	v_mov_b32_e32 v2, 0xff00
	v_lshl_add_u32 v8, s6, 2, v0
	s_movk_i32 s17, 0x108
	ds_write_b32 v6, v2 offset:1472
	s_waitcnt lgkmcnt(0)
	s_add_u32 s18, s2, 8
	v_mov_b32_e32 v2, 0x5c0
	s_movk_i32 s16, 0x5c
	v_ashrrev_i32_e32 v9, 31, v8
	s_addc_u32 s19, s3, 0
	s_mov_b64 s[4:5], 0
	v_mov_b32_e32 v24, 4
	v_mad_u32_u24 v15, v0, s17, v2
	s_mov_b64 s[6:7], 0x200000
	s_mov_b64 s[8:9], 0x5f5e100
	s_mov_b32 s20, 0x1ffff
	s_movk_i32 s21, 0x3fff
	s_movk_i32 s22, 0x3ffe
	v_mov_b32_e32 v16, 1
	v_mov_b32_e32 v17, 20
	v_mov_b32_e32 v18, 21
	v_mov_b32_e32 v19, 5
	s_mov_b32 s23, 0x103c3ce1
	v_bfrev_b32_e32 v20, 15
	v_mov_b32_e32 v21, 11
	s_branch .LBB2_3
.LBB2_1:                                ;   in Loop: Header=BB2_3 Depth=1
	s_or_b64 exec, exec, s[0:1]
.LBB2_2:                                ;   in Loop: Header=BB2_3 Depth=1
	s_or_b64 exec, exec, s[10:11]
	v_cmp_eq_u32_e32 vcc, 0, v22
	s_or_b64 s[4:5], vcc, s[4:5]
	v_mov_b32_e32 v24, v22
	s_andn2_b64 exec, exec, s[4:5]
	s_cbranch_execz .LBB2_42
.LBB2_3:                                ; =>This Inner Loop Header: Depth=1
	v_add_u32_e32 v22, -4, v24
	v_add_u32_e32 v27, v15, v22
	ds_read_u8 v29, v27
	v_add_u32_e32 v2, v24, v15
	v_add_u32_e32 v25, -1, v2
	v_add_u32_e32 v26, -2, v2
	;; [unrolled: 1-line block ×3, first 2 shown]
	s_waitcnt lgkmcnt(0)
	v_bfe_i32 v13, v29, 0, 8
	v_lshlrev_b32_e32 v2, 4, v13
	v_add_u32_e32 v11, v1, v2
	v_lshlrev_b32_e32 v2, 2, v13
	ds_read_u8 v23, v25
	ds_read_u8 v30, v26
	ds_read_i8 v12, v28
	v_mad_u32_u24 v2, v0, s16, v2
	ds_read_b128 v[4:7], v11
	ds_read_b32 v10, v2 offset:2528
	s_waitcnt lgkmcnt(3)
	v_cmp_ne_u16_e64 s[0:1], 0, v30
	s_waitcnt lgkmcnt(2)
	v_cmp_gt_i16_e32 vcc, 0, v12
	s_waitcnt lgkmcnt(1)
	ds_write_b128 v11, v[4:7] offset:16
	s_and_saveexec_b64 s[10:11], s[0:1]
	s_xor_b64 s[10:11], exec, s[10:11]
	s_cbranch_execz .LBB2_9
; %bb.4:                                ;   in Loop: Header=BB2_3 Depth=1
	s_and_saveexec_b64 s[0:1], vcc
	s_xor_b64 s[0:1], exec, s[0:1]
	s_cbranch_execz .LBB2_6
; %bb.5:                                ;   in Loop: Header=BB2_3 Depth=1
	v_lshrrev_b64 v[12:13], v13, s[6:7]
	v_or_b32_e32 v7, v7, v13
	v_or_b32_e32 v6, v6, v12
	ds_write_b64 v11, v[6:7] offset:24
	v_add_u16_e32 v23, 1, v23
                                        ; implicit-def: $vgpr12
                                        ; implicit-def: $vgpr11
.LBB2_6:                                ;   in Loop: Header=BB2_3 Depth=1
	s_andn2_saveexec_b64 s[12:13], s[0:1]
	s_cbranch_execz .LBB2_8
; %bb.7:                                ;   in Loop: Header=BB2_3 Depth=1
	v_add_u32_sdwa v13, v14, sext(v12) dst_sel:DWORD dst_unused:UNUSED_PAD src0_sel:DWORD src1_sel:WORD_0
	v_lshlrev_b32_sdwa v12, sext(v12), v16 dst_sel:DWORD dst_unused:UNUSED_PAD src0_sel:WORD_0 src1_sel:DWORD
	s_waitcnt lgkmcnt(1)
	v_xor_b32_e32 v10, v10, v12
	v_add_co_u32_e64 v12, s[0:1], -1, v6
	ds_write_b8 v13, v29
	v_addc_co_u32_e64 v13, s[0:1], -1, v7, s[0:1]
	v_and_b32_e32 v7, v13, v7
	v_and_b32_e32 v6, v12, v6
	ds_write_b64 v11, v[6:7] offset:24
.LBB2_8:                                ;   in Loop: Header=BB2_3 Depth=1
	s_or_b64 exec, exec, s[12:13]
                                        ; implicit-def: $vgpr12
                                        ; implicit-def: $vgpr11
                                        ; implicit-def: $vgpr13
.LBB2_9:                                ;   in Loop: Header=BB2_3 Depth=1
	s_andn2_saveexec_b64 s[0:1], s[10:11]
	s_cbranch_execz .LBB2_15
; %bb.10:                               ;   in Loop: Header=BB2_3 Depth=1
	s_and_saveexec_b64 s[10:11], vcc
	s_xor_b64 s[10:11], exec, s[10:11]
	s_cbranch_execz .LBB2_12
; %bb.11:                               ;   in Loop: Header=BB2_3 Depth=1
	v_lshrrev_b64 v[12:13], v13, s[6:7]
	v_or_b32_e32 v5, v13, v5
	v_or_b32_e32 v4, v12, v4
	ds_write_b64 v11, v[4:5] offset:16
	v_add_u16_e32 v23, 1, v23
                                        ; implicit-def: $vgpr12
                                        ; implicit-def: $vgpr11
.LBB2_12:                               ;   in Loop: Header=BB2_3 Depth=1
	s_andn2_saveexec_b64 s[10:11], s[10:11]
	s_cbranch_execz .LBB2_14
; %bb.13:                               ;   in Loop: Header=BB2_3 Depth=1
	v_add_u32_sdwa v13, v14, sext(v12) dst_sel:DWORD dst_unused:UNUSED_PAD src0_sel:DWORD src1_sel:WORD_0
	v_lshlrev_b32_sdwa v12, sext(v12), v16 dst_sel:DWORD dst_unused:UNUSED_PAD src0_sel:WORD_0 src1_sel:DWORD
	s_waitcnt lgkmcnt(1)
	v_xor_b32_e32 v10, v10, v12
	v_add_co_u32_e32 v12, vcc, -1, v4
	ds_write_b8 v13, v29
	v_addc_co_u32_e32 v13, vcc, -1, v5, vcc
	v_and_b32_e32 v5, v13, v5
	v_and_b32_e32 v4, v12, v4
	ds_write_b64 v11, v[4:5] offset:16
.LBB2_14:                               ;   in Loop: Header=BB2_3 Depth=1
	s_or_b64 exec, exec, s[10:11]
.LBB2_15:                               ;   in Loop: Header=BB2_3 Depth=1
	s_or_b64 exec, exec, s[0:1]
	v_add_u32_e32 v2, 0x9e0, v2
	v_cmp_gt_i16_sdwa s[0:1], v29, v17 src0_sel:BYTE_0 src1_sel:DWORD
	s_mov_b64 s[12:13], 0
	s_waitcnt lgkmcnt(1)
	ds_write_b32 v2, v10 offset:4
	s_and_saveexec_b64 s[10:11], s[0:1]
	s_xor_b64 s[0:1], exec, s[10:11]
	s_cbranch_execnz .LBB2_18
; %bb.16:                               ;   in Loop: Header=BB2_3 Depth=1
	s_andn2_saveexec_b64 s[10:11], s[0:1]
	s_cbranch_execnz .LBB2_25
.LBB2_17:                               ;   in Loop: Header=BB2_3 Depth=1
	s_or_b64 exec, exec, s[10:11]
	s_and_saveexec_b64 s[10:11], s[12:13]
	s_cbranch_execz .LBB2_2
	s_branch .LBB2_28
.LBB2_18:                               ;   in Loop: Header=BB2_3 Depth=1
	v_cmp_eq_u16_sdwa s[14:15], v29, v18 src0_sel:BYTE_0 src1_sel:DWORD
	s_mov_b64 s[12:13], -1
	s_and_saveexec_b64 s[10:11], s[14:15]
	s_cbranch_execz .LBB2_24
; %bb.19:                               ;   in Loop: Header=BB2_3 Depth=1
	s_mov_b64 s[14:15], exec
	v_mbcnt_lo_u32_b32 v2, s14, 0
	v_mbcnt_hi_u32_b32 v11, s15, v2
	v_cmp_eq_u32_e32 vcc, 0, v11
                                        ; implicit-def: $vgpr12_vgpr13
	s_and_saveexec_b64 s[12:13], vcc
	s_cbranch_execz .LBB2_21
; %bb.20:                               ;   in Loop: Header=BB2_3 Depth=1
	s_bcnt1_i32_b64 s14, s[14:15]
	v_mov_b32_e32 v2, s14
	global_atomic_add_x2 v[12:13], v3, v[2:3], s[2:3] glc
.LBB2_21:                               ;   in Loop: Header=BB2_3 Depth=1
	s_or_b64 exec, exec, s[12:13]
	s_waitcnt vmcnt(0)
	v_readfirstlane_b32 s12, v13
	v_readfirstlane_b32 s13, v12
	v_mov_b32_e32 v2, s12
	v_add_co_u32_e32 v12, vcc, s13, v11
	v_addc_co_u32_e32 v13, vcc, 0, v2, vcc
	v_cmp_gt_i64_e32 vcc, s[8:9], v[12:13]
	s_and_saveexec_b64 s[12:13], vcc
	s_cbranch_execz .LBB2_23
; %bb.22:                               ;   in Loop: Header=BB2_3 Depth=1
	ds_read_b128 v[30:33], v14
	v_lshlrev_b64 v[12:13], 4, v[12:13]
	v_mov_b32_e32 v2, s19
	v_add_co_u32_e32 v12, vcc, s18, v12
	v_addc_co_u32_e32 v13, vcc, v2, v13, vcc
	s_waitcnt lgkmcnt(0)
	global_store_dwordx4 v[12:13], v[30:33], off
.LBB2_23:                               ;   in Loop: Header=BB2_3 Depth=1
	s_or_b64 exec, exec, s[12:13]
	s_xor_b64 s[12:13], exec, -1
.LBB2_24:                               ;   in Loop: Header=BB2_3 Depth=1
	s_or_b64 exec, exec, s[10:11]
	s_and_b64 s[12:13], s[12:13], exec
	s_andn2_saveexec_b64 s[10:11], s[0:1]
	s_cbranch_execz .LBB2_17
.LBB2_25:                               ;   in Loop: Header=BB2_3 Depth=1
	v_cmp_eq_u16_sdwa s[24:25], v29, v19 src0_sel:BYTE_0 src1_sel:DWORD
	s_mov_b64 s[0:1], -1
	s_and_saveexec_b64 s[14:15], s[24:25]
	s_cbranch_execz .LBB2_27
; %bb.26:                               ;   in Loop: Header=BB2_3 Depth=1
	v_sub_co_u32_e32 v2, vcc, v6, v4
	v_ashrrev_i32_e32 v11, 31, v10
	v_mad_u64_u32 v[12:13], s[0:1], v2, s20, v[10:11]
	v_subb_co_u32_e32 v30, vcc, v7, v5, vcc
	v_mov_b32_e32 v2, v13
	v_mad_u64_u32 v[30:31], s[0:1], v30, s20, v[2:3]
	s_add_u32 s0, 0x3c3dd, s23
	s_addc_u32 s1, 0, 0
	v_add_co_u32_e32 v2, vcc, s0, v20
	s_cmp_lg_u64 vcc, 0
	v_readfirstlane_b32 s24, v2
	s_addc_u32 s0, s1, 0x4000f
	s_mul_hi_u32 s25, s24, 0xffffc001
	s_mul_i32 s1, s0, 0xffffc001
	s_sub_i32 s25, s25, s24
	s_add_i32 s25, s25, s1
	s_mul_i32 s27, s24, 0xffffc001
	s_mul_hi_u32 s1, s24, s25
	s_mul_i32 s26, s24, s25
	s_mul_hi_u32 s24, s24, s27
	s_add_u32 s24, s24, s26
	s_addc_u32 s1, 0, s1
	s_mul_hi_u32 s28, s0, s27
	s_mul_i32 s27, s0, s27
	s_add_u32 s24, s24, s27
	s_mul_hi_u32 s26, s0, s25
	s_addc_u32 s1, s1, s28
	s_addc_u32 s24, s26, 0
	s_mul_i32 s25, s0, s25
	s_add_u32 s1, s1, s25
	s_addc_u32 s24, 0, s24
	v_add_co_u32_e32 v2, vcc, s1, v2
	s_cmp_lg_u64 vcc, 0
	s_addc_u32 s24, s0, s24
	v_mad_u64_u32 v[32:33], s[0:1], v12, s24, 0
	v_mul_hi_u32 v11, v12, v2
	v_add_co_u32_e32 v11, vcc, v11, v32
	v_addc_co_u32_e32 v13, vcc, 0, v33, vcc
	v_mad_u64_u32 v[34:35], s[0:1], v30, v2, 0
	v_add_co_u32_e32 v2, vcc, v11, v34
	v_mad_u64_u32 v[32:33], s[0:1], v30, s24, 0
	v_addc_co_u32_e32 v2, vcc, v13, v35, vcc
	v_addc_co_u32_e32 v11, vcc, 0, v33, vcc
	v_add_co_u32_e32 v2, vcc, v2, v32
	v_mad_u64_u32 v[32:33], s[0:1], v2, s21, 0
	v_addc_co_u32_e32 v11, vcc, 0, v11, vcc
	v_mov_b32_e32 v2, v33
	v_mad_u64_u32 v[34:35], s[0:1], v11, s21, v[2:3]
	v_sub_co_u32_e32 v2, vcc, v12, v32
	v_subb_co_u32_e32 v11, vcc, v30, v34, vcc
	v_subrev_co_u32_e32 v12, vcc, s21, v2
	v_subbrev_co_u32_e32 v13, vcc, 0, v11, vcc
	v_subrev_co_u32_e32 v30, vcc, s21, v12
	v_subbrev_co_u32_e32 v31, vcc, 0, v13, vcc
	v_cmp_lt_u32_e32 vcc, s22, v12
	v_cndmask_b32_e64 v32, 0, -1, vcc
	v_cmp_eq_u32_e32 vcc, 0, v13
	v_cndmask_b32_e32 v32, -1, v32, vcc
	v_cmp_ne_u32_e32 vcc, 0, v32
	v_cmp_lt_u32_e64 s[0:1], s22, v2
	v_cndmask_b32_e32 v13, v13, v31, vcc
	v_cndmask_b32_e64 v31, 0, -1, s[0:1]
	v_cmp_eq_u32_e64 s[0:1], 0, v11
	v_cndmask_b32_e64 v31, -1, v31, s[0:1]
	v_cmp_ne_u32_e64 s[0:1], 0, v31
	v_cndmask_b32_e64 v13, v11, v13, s[0:1]
	v_cndmask_b32_e32 v11, v12, v30, vcc
	v_cndmask_b32_e64 v12, v2, v11, s[0:1]
	v_cmp_eq_u64_e32 vcc, v[12:13], v[8:9]
	s_orn2_b64 s[0:1], vcc, exec
.LBB2_27:                               ;   in Loop: Header=BB2_3 Depth=1
	s_or_b64 exec, exec, s[14:15]
	s_andn2_b64 s[12:13], s[12:13], exec
	s_and_b64 s[0:1], s[0:1], exec
	s_or_b64 s[12:13], s[12:13], s[0:1]
	s_or_b64 exec, exec, s[10:11]
	s_and_saveexec_b64 s[10:11], s[12:13]
	s_cbranch_execz .LBB2_2
.LBB2_28:                               ;   in Loop: Header=BB2_3 Depth=1
	v_add_u16_e32 v2, 1, v29
	v_bfe_i32 v2, v2, 0, 8
	v_subrev_u16_e32 v11, 22, v29
	v_cmp_gt_i16_e32 vcc, 12, v2
	v_cmp_ne_u64_e64 s[0:1], 0, v[4:5]
	s_and_saveexec_b64 s[12:13], s[0:1]
	s_cbranch_execnz .LBB2_31
; %bb.29:                               ;   in Loop: Header=BB2_3 Depth=1
	s_or_b64 exec, exec, s[12:13]
	v_cmp_ne_u64_e64 s[0:1], 0, v[6:7]
	s_and_saveexec_b64 s[12:13], s[0:1]
	s_cbranch_execnz .LBB2_36
.LBB2_30:                               ;   in Loop: Header=BB2_3 Depth=1
	s_or_b64 exec, exec, s[12:13]
	v_cmp_lt_i16_sdwa s[12:13], sext(v23), v21 src0_sel:BYTE_0 src1_sel:DWORD
	s_and_saveexec_b64 s[0:1], s[12:13]
	s_cbranch_execz .LBB2_1
	s_branch .LBB2_41
.LBB2_31:                               ;   in Loop: Header=BB2_3 Depth=1
	v_ffbl_b32_e32 v5, v5
	v_add_u32_e32 v5, 32, v5
	v_ffbl_b32_e32 v4, v4
	v_min_u32_e32 v4, v4, v5
	v_add_u16_e32 v4, v11, v4
	v_cmp_lt_u16_sdwa s[0:1], v4, v21 src0_sel:BYTE_0 src1_sel:DWORD
	s_and_saveexec_b64 s[14:15], s[0:1]
	s_cbranch_execz .LBB2_35
; %bb.32:                               ;   in Loop: Header=BB2_3 Depth=1
	v_lshrrev_b32_e32 v5, v4, v10
	v_and_b32_e32 v5, 1, v5
	v_cmp_ne_u16_sdwa s[24:25], v4, v3 src0_sel:BYTE_0 src1_sel:DWORD
	v_cmp_eq_u32_e64 s[0:1], 1, v5
	s_or_b64 s[24:25], vcc, s[24:25]
	s_and_b64 s[24:25], s[24:25], s[0:1]
	s_and_saveexec_b64 s[0:1], s[24:25]
	s_cbranch_execz .LBB2_34
; %bb.33:                               ;   in Loop: Header=BB2_3 Depth=1
	v_mov_b32_e32 v22, v24
	ds_write_b8 v27, v2
	ds_write_b8 v28, v4
	;; [unrolled: 1-line block ×4, first 2 shown]
.LBB2_34:                               ;   in Loop: Header=BB2_3 Depth=1
	s_or_b64 exec, exec, s[0:1]
.LBB2_35:                               ;   in Loop: Header=BB2_3 Depth=1
	s_or_b64 exec, exec, s[14:15]
	s_or_b64 exec, exec, s[12:13]
	v_cmp_ne_u64_e64 s[0:1], 0, v[6:7]
	s_and_saveexec_b64 s[12:13], s[0:1]
	s_cbranch_execz .LBB2_30
.LBB2_36:                               ;   in Loop: Header=BB2_3 Depth=1
	v_ffbl_b32_e32 v4, v7
	v_add_u32_e32 v4, 32, v4
	v_ffbl_b32_e32 v5, v6
	v_min_u32_e32 v4, v5, v4
	v_add_u16_e32 v4, v11, v4
	v_cmp_lt_u16_sdwa s[0:1], v4, v21 src0_sel:BYTE_0 src1_sel:DWORD
	s_and_saveexec_b64 s[14:15], s[0:1]
	s_cbranch_execz .LBB2_40
; %bb.37:                               ;   in Loop: Header=BB2_3 Depth=1
	v_lshrrev_b32_e32 v5, v4, v10
	v_and_b32_e32 v5, 1, v5
	v_cmp_ne_u16_sdwa s[24:25], v4, v3 src0_sel:BYTE_0 src1_sel:DWORD
	v_cmp_eq_u32_e64 s[0:1], 1, v5
	s_or_b64 s[24:25], vcc, s[24:25]
	s_and_b64 s[24:25], s[24:25], s[0:1]
	s_and_saveexec_b64 s[0:1], s[24:25]
	s_cbranch_execz .LBB2_39
; %bb.38:                               ;   in Loop: Header=BB2_3 Depth=1
	v_mad_u32_u24 v5, v0, s17, v22
	v_add_u32_e32 v22, 4, v22
	ds_write_b8 v5, v2 offset:1472
	ds_write_b8 v5, v4 offset:1473
	;; [unrolled: 1-line block ×4, first 2 shown]
.LBB2_39:                               ;   in Loop: Header=BB2_3 Depth=1
	s_or_b64 exec, exec, s[0:1]
.LBB2_40:                               ;   in Loop: Header=BB2_3 Depth=1
	s_or_b64 exec, exec, s[14:15]
	s_or_b64 exec, exec, s[12:13]
	v_cmp_lt_i16_sdwa s[12:13], sext(v23), v21 src0_sel:BYTE_0 src1_sel:DWORD
	s_and_saveexec_b64 s[0:1], s[12:13]
	s_cbranch_execz .LBB2_1
.LBB2_41:                               ;   in Loop: Header=BB2_3 Depth=1
	v_or_b32_e32 v2, 0xffffff00, v2
	v_lshlrev_b16_e32 v4, 8, v23
	v_and_b32_e32 v2, 0xffff, v2
	v_or_b32_sdwa v4, v4, v16 dst_sel:WORD_1 dst_unused:UNUSED_PAD src0_sel:DWORD src1_sel:DWORD
	v_mad_u32_u24 v6, v0, s17, v22
	v_add_u32_e32 v22, 8, v22
	v_or_b32_e32 v4, v2, v4
	v_lshl_or_b32 v5, v23, 24, v2
	ds_write_b64 v6, v[4:5] offset:1472
	s_branch .LBB2_1
.LBB2_42:
	s_endpgm
	.section	.rodata,"a",@progbits
	.p2align	6, 0x0
	.amdhsa_kernel _Z7dfs_gpuILi11EEvPl
		.amdhsa_group_segment_fixed_size 2960
		.amdhsa_private_segment_fixed_size 0
		.amdhsa_kernarg_size 8
		.amdhsa_user_sgpr_count 6
		.amdhsa_user_sgpr_private_segment_buffer 1
		.amdhsa_user_sgpr_dispatch_ptr 0
		.amdhsa_user_sgpr_queue_ptr 0
		.amdhsa_user_sgpr_kernarg_segment_ptr 1
		.amdhsa_user_sgpr_dispatch_id 0
		.amdhsa_user_sgpr_flat_scratch_init 0
		.amdhsa_user_sgpr_kernarg_preload_length 0
		.amdhsa_user_sgpr_kernarg_preload_offset 0
		.amdhsa_user_sgpr_private_segment_size 0
		.amdhsa_uses_dynamic_stack 0
		.amdhsa_system_sgpr_private_segment_wavefront_offset 0
		.amdhsa_system_sgpr_workgroup_id_x 1
		.amdhsa_system_sgpr_workgroup_id_y 0
		.amdhsa_system_sgpr_workgroup_id_z 0
		.amdhsa_system_sgpr_workgroup_info 0
		.amdhsa_system_vgpr_workitem_id 0
		.amdhsa_next_free_vgpr 36
		.amdhsa_next_free_sgpr 29
		.amdhsa_accum_offset 36
		.amdhsa_reserve_vcc 1
		.amdhsa_reserve_flat_scratch 0
		.amdhsa_float_round_mode_32 0
		.amdhsa_float_round_mode_16_64 0
		.amdhsa_float_denorm_mode_32 3
		.amdhsa_float_denorm_mode_16_64 3
		.amdhsa_dx10_clamp 1
		.amdhsa_ieee_mode 1
		.amdhsa_fp16_overflow 0
		.amdhsa_tg_split 0
		.amdhsa_exception_fp_ieee_invalid_op 0
		.amdhsa_exception_fp_denorm_src 0
		.amdhsa_exception_fp_ieee_div_zero 0
		.amdhsa_exception_fp_ieee_overflow 0
		.amdhsa_exception_fp_ieee_underflow 0
		.amdhsa_exception_fp_ieee_inexact 0
		.amdhsa_exception_int_div_zero 0
	.end_amdhsa_kernel
	.section	.text._Z7dfs_gpuILi11EEvPl,"axG",@progbits,_Z7dfs_gpuILi11EEvPl,comdat
.Lfunc_end2:
	.size	_Z7dfs_gpuILi11EEvPl, .Lfunc_end2-_Z7dfs_gpuILi11EEvPl
                                        ; -- End function
	.section	.AMDGPU.csdata,"",@progbits
; Kernel info:
; codeLenInByte = 1728
; NumSgprs: 33
; NumVgprs: 36
; NumAgprs: 0
; TotalNumVgprs: 36
; ScratchSize: 0
; MemoryBound: 0
; FloatMode: 240
; IeeeMode: 1
; LDSByteSize: 2960 bytes/workgroup (compile time only)
; SGPRBlocks: 4
; VGPRBlocks: 4
; NumSGPRsForWavesPerEU: 33
; NumVGPRsForWavesPerEU: 36
; AccumOffset: 36
; Occupancy: 8
; WaveLimiterHint : 0
; COMPUTE_PGM_RSRC2:SCRATCH_EN: 0
; COMPUTE_PGM_RSRC2:USER_SGPR: 6
; COMPUTE_PGM_RSRC2:TRAP_HANDLER: 0
; COMPUTE_PGM_RSRC2:TGID_X_EN: 1
; COMPUTE_PGM_RSRC2:TGID_Y_EN: 0
; COMPUTE_PGM_RSRC2:TGID_Z_EN: 0
; COMPUTE_PGM_RSRC2:TIDIG_COMP_CNT: 0
; COMPUTE_PGM_RSRC3_GFX90A:ACCUM_OFFSET: 8
; COMPUTE_PGM_RSRC3_GFX90A:TG_SPLIT: 0
	.section	.text._Z7dfs_gpuILi12EEvPl,"axG",@progbits,_Z7dfs_gpuILi12EEvPl,comdat
	.protected	_Z7dfs_gpuILi12EEvPl    ; -- Begin function _Z7dfs_gpuILi12EEvPl
	.globl	_Z7dfs_gpuILi12EEvPl
	.p2align	8
	.type	_Z7dfs_gpuILi12EEvPl,@function
_Z7dfs_gpuILi12EEvPl:                   ; @_Z7dfs_gpuILi12EEvPl
; %bb.0:
	s_load_dwordx2 s[2:3], s[4:5], 0x0
	v_mov_b32_e32 v3, 0xc50
	v_mul_u32_u24_e32 v2, 0x64, v0
	v_lshl_add_u32 v14, v0, 4, v3
	v_mov_b32_e32 v3, 0xfff
	ds_write_b32 v2, v3 offset:2752
	v_mov_b32_e32 v3, 0
	v_mul_u32_u24_e32 v1, 0x190, v0
	v_mov_b32_e32 v2, v3
	v_mov_b32_e32 v4, v3
	;; [unrolled: 1-line block ×3, first 2 shown]
	v_mul_u32_u24_e32 v6, 0x120, v0
	ds_write_b128 v1, v[2:5]
	v_mov_b32_e32 v2, 0xff00
	v_lshl_add_u32 v8, s6, 2, v0
	s_movk_i32 s17, 0x120
	ds_write_b32 v6, v2 offset:1600
	s_waitcnt lgkmcnt(0)
	s_add_u32 s18, s2, 8
	v_mov_b32_e32 v2, 0x640
	s_movk_i32 s16, 0x64
	v_ashrrev_i32_e32 v9, 31, v8
	s_addc_u32 s19, s3, 0
	s_mov_b64 s[4:5], 0
	v_mov_b32_e32 v24, 4
	v_mad_u32_u24 v15, v0, s17, v2
	s_mov_b64 s[6:7], 0x800000
	s_mov_b64 s[8:9], 0x5f5e100
	s_mov_b32 s20, 0x1ffff
	s_movk_i32 s21, 0x3fff
	s_movk_i32 s22, 0x3ffe
	v_mov_b32_e32 v16, 1
	v_mov_b32_e32 v17, 22
	;; [unrolled: 1-line block ×4, first 2 shown]
	s_mov_b32 s23, 0x103c3ce1
	v_bfrev_b32_e32 v20, 15
	v_mov_b32_e32 v21, 12
	s_branch .LBB3_3
.LBB3_1:                                ;   in Loop: Header=BB3_3 Depth=1
	s_or_b64 exec, exec, s[0:1]
.LBB3_2:                                ;   in Loop: Header=BB3_3 Depth=1
	s_or_b64 exec, exec, s[10:11]
	v_cmp_eq_u32_e32 vcc, 0, v22
	s_or_b64 s[4:5], vcc, s[4:5]
	v_mov_b32_e32 v24, v22
	s_andn2_b64 exec, exec, s[4:5]
	s_cbranch_execz .LBB3_42
.LBB3_3:                                ; =>This Inner Loop Header: Depth=1
	v_add_u32_e32 v22, -4, v24
	v_add_u32_e32 v27, v15, v22
	ds_read_u8 v29, v27
	v_add_u32_e32 v2, v24, v15
	v_add_u32_e32 v25, -1, v2
	v_add_u32_e32 v26, -2, v2
	;; [unrolled: 1-line block ×3, first 2 shown]
	s_waitcnt lgkmcnt(0)
	v_bfe_i32 v13, v29, 0, 8
	v_lshlrev_b32_e32 v2, 4, v13
	v_add_u32_e32 v11, v1, v2
	v_lshlrev_b32_e32 v2, 2, v13
	ds_read_u8 v23, v25
	ds_read_u8 v30, v26
	ds_read_i8 v12, v28
	v_mad_u32_u24 v2, v0, s16, v2
	ds_read_b128 v[4:7], v11
	ds_read_b32 v10, v2 offset:2752
	s_waitcnt lgkmcnt(3)
	v_cmp_ne_u16_e64 s[0:1], 0, v30
	s_waitcnt lgkmcnt(2)
	v_cmp_gt_i16_e32 vcc, 0, v12
	s_waitcnt lgkmcnt(1)
	ds_write_b128 v11, v[4:7] offset:16
	s_and_saveexec_b64 s[10:11], s[0:1]
	s_xor_b64 s[10:11], exec, s[10:11]
	s_cbranch_execz .LBB3_9
; %bb.4:                                ;   in Loop: Header=BB3_3 Depth=1
	s_and_saveexec_b64 s[0:1], vcc
	s_xor_b64 s[0:1], exec, s[0:1]
	s_cbranch_execz .LBB3_6
; %bb.5:                                ;   in Loop: Header=BB3_3 Depth=1
	v_lshrrev_b64 v[12:13], v13, s[6:7]
	v_or_b32_e32 v7, v7, v13
	v_or_b32_e32 v6, v6, v12
	ds_write_b64 v11, v[6:7] offset:24
	v_add_u16_e32 v23, 1, v23
                                        ; implicit-def: $vgpr12
                                        ; implicit-def: $vgpr11
.LBB3_6:                                ;   in Loop: Header=BB3_3 Depth=1
	s_andn2_saveexec_b64 s[12:13], s[0:1]
	s_cbranch_execz .LBB3_8
; %bb.7:                                ;   in Loop: Header=BB3_3 Depth=1
	v_add_u32_sdwa v13, v14, sext(v12) dst_sel:DWORD dst_unused:UNUSED_PAD src0_sel:DWORD src1_sel:WORD_0
	v_lshlrev_b32_sdwa v12, sext(v12), v16 dst_sel:DWORD dst_unused:UNUSED_PAD src0_sel:WORD_0 src1_sel:DWORD
	s_waitcnt lgkmcnt(1)
	v_xor_b32_e32 v10, v10, v12
	v_add_co_u32_e64 v12, s[0:1], -1, v6
	ds_write_b8 v13, v29
	v_addc_co_u32_e64 v13, s[0:1], -1, v7, s[0:1]
	v_and_b32_e32 v7, v13, v7
	v_and_b32_e32 v6, v12, v6
	ds_write_b64 v11, v[6:7] offset:24
.LBB3_8:                                ;   in Loop: Header=BB3_3 Depth=1
	s_or_b64 exec, exec, s[12:13]
                                        ; implicit-def: $vgpr12
                                        ; implicit-def: $vgpr11
                                        ; implicit-def: $vgpr13
.LBB3_9:                                ;   in Loop: Header=BB3_3 Depth=1
	s_andn2_saveexec_b64 s[0:1], s[10:11]
	s_cbranch_execz .LBB3_15
; %bb.10:                               ;   in Loop: Header=BB3_3 Depth=1
	s_and_saveexec_b64 s[10:11], vcc
	s_xor_b64 s[10:11], exec, s[10:11]
	s_cbranch_execz .LBB3_12
; %bb.11:                               ;   in Loop: Header=BB3_3 Depth=1
	v_lshrrev_b64 v[12:13], v13, s[6:7]
	v_or_b32_e32 v5, v13, v5
	v_or_b32_e32 v4, v12, v4
	ds_write_b64 v11, v[4:5] offset:16
	v_add_u16_e32 v23, 1, v23
                                        ; implicit-def: $vgpr12
                                        ; implicit-def: $vgpr11
.LBB3_12:                               ;   in Loop: Header=BB3_3 Depth=1
	s_andn2_saveexec_b64 s[10:11], s[10:11]
	s_cbranch_execz .LBB3_14
; %bb.13:                               ;   in Loop: Header=BB3_3 Depth=1
	v_add_u32_sdwa v13, v14, sext(v12) dst_sel:DWORD dst_unused:UNUSED_PAD src0_sel:DWORD src1_sel:WORD_0
	v_lshlrev_b32_sdwa v12, sext(v12), v16 dst_sel:DWORD dst_unused:UNUSED_PAD src0_sel:WORD_0 src1_sel:DWORD
	s_waitcnt lgkmcnt(1)
	v_xor_b32_e32 v10, v10, v12
	v_add_co_u32_e32 v12, vcc, -1, v4
	ds_write_b8 v13, v29
	v_addc_co_u32_e32 v13, vcc, -1, v5, vcc
	v_and_b32_e32 v5, v13, v5
	v_and_b32_e32 v4, v12, v4
	ds_write_b64 v11, v[4:5] offset:16
.LBB3_14:                               ;   in Loop: Header=BB3_3 Depth=1
	s_or_b64 exec, exec, s[10:11]
.LBB3_15:                               ;   in Loop: Header=BB3_3 Depth=1
	s_or_b64 exec, exec, s[0:1]
	v_add_u32_e32 v2, 0xac0, v2
	v_cmp_gt_i16_sdwa s[0:1], v29, v17 src0_sel:BYTE_0 src1_sel:DWORD
	s_mov_b64 s[12:13], 0
	s_waitcnt lgkmcnt(1)
	ds_write_b32 v2, v10 offset:4
	s_and_saveexec_b64 s[10:11], s[0:1]
	s_xor_b64 s[0:1], exec, s[10:11]
	s_cbranch_execnz .LBB3_18
; %bb.16:                               ;   in Loop: Header=BB3_3 Depth=1
	s_andn2_saveexec_b64 s[10:11], s[0:1]
	s_cbranch_execnz .LBB3_25
.LBB3_17:                               ;   in Loop: Header=BB3_3 Depth=1
	s_or_b64 exec, exec, s[10:11]
	s_and_saveexec_b64 s[10:11], s[12:13]
	s_cbranch_execz .LBB3_2
	s_branch .LBB3_28
.LBB3_18:                               ;   in Loop: Header=BB3_3 Depth=1
	v_cmp_eq_u16_sdwa s[14:15], v29, v18 src0_sel:BYTE_0 src1_sel:DWORD
	s_mov_b64 s[12:13], -1
	s_and_saveexec_b64 s[10:11], s[14:15]
	s_cbranch_execz .LBB3_24
; %bb.19:                               ;   in Loop: Header=BB3_3 Depth=1
	s_mov_b64 s[14:15], exec
	v_mbcnt_lo_u32_b32 v2, s14, 0
	v_mbcnt_hi_u32_b32 v11, s15, v2
	v_cmp_eq_u32_e32 vcc, 0, v11
                                        ; implicit-def: $vgpr12_vgpr13
	s_and_saveexec_b64 s[12:13], vcc
	s_cbranch_execz .LBB3_21
; %bb.20:                               ;   in Loop: Header=BB3_3 Depth=1
	s_bcnt1_i32_b64 s14, s[14:15]
	v_mov_b32_e32 v2, s14
	global_atomic_add_x2 v[12:13], v3, v[2:3], s[2:3] glc
.LBB3_21:                               ;   in Loop: Header=BB3_3 Depth=1
	s_or_b64 exec, exec, s[12:13]
	s_waitcnt vmcnt(0)
	v_readfirstlane_b32 s12, v13
	v_readfirstlane_b32 s13, v12
	v_mov_b32_e32 v2, s12
	v_add_co_u32_e32 v12, vcc, s13, v11
	v_addc_co_u32_e32 v13, vcc, 0, v2, vcc
	v_cmp_gt_i64_e32 vcc, s[8:9], v[12:13]
	s_and_saveexec_b64 s[12:13], vcc
	s_cbranch_execz .LBB3_23
; %bb.22:                               ;   in Loop: Header=BB3_3 Depth=1
	ds_read_b128 v[30:33], v14
	v_lshlrev_b64 v[12:13], 4, v[12:13]
	v_mov_b32_e32 v2, s19
	v_add_co_u32_e32 v12, vcc, s18, v12
	v_addc_co_u32_e32 v13, vcc, v2, v13, vcc
	s_waitcnt lgkmcnt(0)
	global_store_dwordx4 v[12:13], v[30:33], off
.LBB3_23:                               ;   in Loop: Header=BB3_3 Depth=1
	s_or_b64 exec, exec, s[12:13]
	s_xor_b64 s[12:13], exec, -1
.LBB3_24:                               ;   in Loop: Header=BB3_3 Depth=1
	s_or_b64 exec, exec, s[10:11]
	s_and_b64 s[12:13], s[12:13], exec
	s_andn2_saveexec_b64 s[10:11], s[0:1]
	s_cbranch_execz .LBB3_17
.LBB3_25:                               ;   in Loop: Header=BB3_3 Depth=1
	v_cmp_eq_u16_sdwa s[24:25], v29, v19 src0_sel:BYTE_0 src1_sel:DWORD
	s_mov_b64 s[0:1], -1
	s_and_saveexec_b64 s[14:15], s[24:25]
	s_cbranch_execz .LBB3_27
; %bb.26:                               ;   in Loop: Header=BB3_3 Depth=1
	v_sub_co_u32_e32 v2, vcc, v6, v4
	v_ashrrev_i32_e32 v11, 31, v10
	v_mad_u64_u32 v[12:13], s[0:1], v2, s20, v[10:11]
	v_subb_co_u32_e32 v30, vcc, v7, v5, vcc
	v_mov_b32_e32 v2, v13
	v_mad_u64_u32 v[30:31], s[0:1], v30, s20, v[2:3]
	s_add_u32 s0, 0x3c3dd, s23
	s_addc_u32 s1, 0, 0
	v_add_co_u32_e32 v2, vcc, s0, v20
	s_cmp_lg_u64 vcc, 0
	v_readfirstlane_b32 s24, v2
	s_addc_u32 s0, s1, 0x4000f
	s_mul_hi_u32 s25, s24, 0xffffc001
	s_mul_i32 s1, s0, 0xffffc001
	s_sub_i32 s25, s25, s24
	s_add_i32 s25, s25, s1
	s_mul_i32 s27, s24, 0xffffc001
	s_mul_hi_u32 s1, s24, s25
	s_mul_i32 s26, s24, s25
	s_mul_hi_u32 s24, s24, s27
	s_add_u32 s24, s24, s26
	s_addc_u32 s1, 0, s1
	s_mul_hi_u32 s28, s0, s27
	s_mul_i32 s27, s0, s27
	s_add_u32 s24, s24, s27
	s_mul_hi_u32 s26, s0, s25
	s_addc_u32 s1, s1, s28
	s_addc_u32 s24, s26, 0
	s_mul_i32 s25, s0, s25
	s_add_u32 s1, s1, s25
	s_addc_u32 s24, 0, s24
	v_add_co_u32_e32 v2, vcc, s1, v2
	s_cmp_lg_u64 vcc, 0
	s_addc_u32 s24, s0, s24
	v_mad_u64_u32 v[32:33], s[0:1], v12, s24, 0
	v_mul_hi_u32 v11, v12, v2
	v_add_co_u32_e32 v11, vcc, v11, v32
	v_addc_co_u32_e32 v13, vcc, 0, v33, vcc
	v_mad_u64_u32 v[34:35], s[0:1], v30, v2, 0
	v_add_co_u32_e32 v2, vcc, v11, v34
	v_mad_u64_u32 v[32:33], s[0:1], v30, s24, 0
	v_addc_co_u32_e32 v2, vcc, v13, v35, vcc
	v_addc_co_u32_e32 v11, vcc, 0, v33, vcc
	v_add_co_u32_e32 v2, vcc, v2, v32
	v_mad_u64_u32 v[32:33], s[0:1], v2, s21, 0
	v_addc_co_u32_e32 v11, vcc, 0, v11, vcc
	v_mov_b32_e32 v2, v33
	v_mad_u64_u32 v[34:35], s[0:1], v11, s21, v[2:3]
	v_sub_co_u32_e32 v2, vcc, v12, v32
	v_subb_co_u32_e32 v11, vcc, v30, v34, vcc
	v_subrev_co_u32_e32 v12, vcc, s21, v2
	v_subbrev_co_u32_e32 v13, vcc, 0, v11, vcc
	v_subrev_co_u32_e32 v30, vcc, s21, v12
	v_subbrev_co_u32_e32 v31, vcc, 0, v13, vcc
	v_cmp_lt_u32_e32 vcc, s22, v12
	v_cndmask_b32_e64 v32, 0, -1, vcc
	v_cmp_eq_u32_e32 vcc, 0, v13
	v_cndmask_b32_e32 v32, -1, v32, vcc
	v_cmp_ne_u32_e32 vcc, 0, v32
	v_cmp_lt_u32_e64 s[0:1], s22, v2
	v_cndmask_b32_e32 v13, v13, v31, vcc
	v_cndmask_b32_e64 v31, 0, -1, s[0:1]
	v_cmp_eq_u32_e64 s[0:1], 0, v11
	v_cndmask_b32_e64 v31, -1, v31, s[0:1]
	v_cmp_ne_u32_e64 s[0:1], 0, v31
	v_cndmask_b32_e64 v13, v11, v13, s[0:1]
	v_cndmask_b32_e32 v11, v12, v30, vcc
	v_cndmask_b32_e64 v12, v2, v11, s[0:1]
	v_cmp_eq_u64_e32 vcc, v[12:13], v[8:9]
	s_orn2_b64 s[0:1], vcc, exec
.LBB3_27:                               ;   in Loop: Header=BB3_3 Depth=1
	s_or_b64 exec, exec, s[14:15]
	s_andn2_b64 s[12:13], s[12:13], exec
	s_and_b64 s[0:1], s[0:1], exec
	s_or_b64 s[12:13], s[12:13], s[0:1]
	s_or_b64 exec, exec, s[10:11]
	s_and_saveexec_b64 s[10:11], s[12:13]
	s_cbranch_execz .LBB3_2
.LBB3_28:                               ;   in Loop: Header=BB3_3 Depth=1
	v_add_u16_e32 v2, 1, v29
	v_bfe_i32 v2, v2, 0, 8
	v_subrev_u16_e32 v11, 24, v29
	v_cmp_gt_i16_e32 vcc, 13, v2
	v_cmp_ne_u64_e64 s[0:1], 0, v[4:5]
	s_and_saveexec_b64 s[12:13], s[0:1]
	s_cbranch_execnz .LBB3_31
; %bb.29:                               ;   in Loop: Header=BB3_3 Depth=1
	s_or_b64 exec, exec, s[12:13]
	v_cmp_ne_u64_e64 s[0:1], 0, v[6:7]
	s_and_saveexec_b64 s[12:13], s[0:1]
	s_cbranch_execnz .LBB3_36
.LBB3_30:                               ;   in Loop: Header=BB3_3 Depth=1
	s_or_b64 exec, exec, s[12:13]
	v_cmp_lt_i16_sdwa s[12:13], sext(v23), v21 src0_sel:BYTE_0 src1_sel:DWORD
	s_and_saveexec_b64 s[0:1], s[12:13]
	s_cbranch_execz .LBB3_1
	s_branch .LBB3_41
.LBB3_31:                               ;   in Loop: Header=BB3_3 Depth=1
	v_ffbl_b32_e32 v5, v5
	v_add_u32_e32 v5, 32, v5
	v_ffbl_b32_e32 v4, v4
	v_min_u32_e32 v4, v4, v5
	v_add_u16_e32 v4, v11, v4
	v_cmp_lt_u16_sdwa s[0:1], v4, v21 src0_sel:BYTE_0 src1_sel:DWORD
	s_and_saveexec_b64 s[14:15], s[0:1]
	s_cbranch_execz .LBB3_35
; %bb.32:                               ;   in Loop: Header=BB3_3 Depth=1
	v_lshrrev_b32_e32 v5, v4, v10
	v_and_b32_e32 v5, 1, v5
	v_cmp_ne_u16_sdwa s[24:25], v4, v3 src0_sel:BYTE_0 src1_sel:DWORD
	v_cmp_eq_u32_e64 s[0:1], 1, v5
	s_or_b64 s[24:25], vcc, s[24:25]
	s_and_b64 s[24:25], s[24:25], s[0:1]
	s_and_saveexec_b64 s[0:1], s[24:25]
	s_cbranch_execz .LBB3_34
; %bb.33:                               ;   in Loop: Header=BB3_3 Depth=1
	v_mov_b32_e32 v22, v24
	ds_write_b8 v27, v2
	ds_write_b8 v28, v4
	;; [unrolled: 1-line block ×4, first 2 shown]
.LBB3_34:                               ;   in Loop: Header=BB3_3 Depth=1
	s_or_b64 exec, exec, s[0:1]
.LBB3_35:                               ;   in Loop: Header=BB3_3 Depth=1
	s_or_b64 exec, exec, s[14:15]
	s_or_b64 exec, exec, s[12:13]
	v_cmp_ne_u64_e64 s[0:1], 0, v[6:7]
	s_and_saveexec_b64 s[12:13], s[0:1]
	s_cbranch_execz .LBB3_30
.LBB3_36:                               ;   in Loop: Header=BB3_3 Depth=1
	v_ffbl_b32_e32 v4, v7
	v_add_u32_e32 v4, 32, v4
	v_ffbl_b32_e32 v5, v6
	v_min_u32_e32 v4, v5, v4
	v_add_u16_e32 v4, v11, v4
	v_cmp_lt_u16_sdwa s[0:1], v4, v21 src0_sel:BYTE_0 src1_sel:DWORD
	s_and_saveexec_b64 s[14:15], s[0:1]
	s_cbranch_execz .LBB3_40
; %bb.37:                               ;   in Loop: Header=BB3_3 Depth=1
	v_lshrrev_b32_e32 v5, v4, v10
	v_and_b32_e32 v5, 1, v5
	v_cmp_ne_u16_sdwa s[24:25], v4, v3 src0_sel:BYTE_0 src1_sel:DWORD
	v_cmp_eq_u32_e64 s[0:1], 1, v5
	s_or_b64 s[24:25], vcc, s[24:25]
	s_and_b64 s[24:25], s[24:25], s[0:1]
	s_and_saveexec_b64 s[0:1], s[24:25]
	s_cbranch_execz .LBB3_39
; %bb.38:                               ;   in Loop: Header=BB3_3 Depth=1
	v_mad_u32_u24 v5, v0, s17, v22
	v_add_u32_e32 v22, 4, v22
	ds_write_b8 v5, v2 offset:1600
	ds_write_b8 v5, v4 offset:1601
	;; [unrolled: 1-line block ×4, first 2 shown]
.LBB3_39:                               ;   in Loop: Header=BB3_3 Depth=1
	s_or_b64 exec, exec, s[0:1]
.LBB3_40:                               ;   in Loop: Header=BB3_3 Depth=1
	s_or_b64 exec, exec, s[14:15]
	s_or_b64 exec, exec, s[12:13]
	v_cmp_lt_i16_sdwa s[12:13], sext(v23), v21 src0_sel:BYTE_0 src1_sel:DWORD
	s_and_saveexec_b64 s[0:1], s[12:13]
	s_cbranch_execz .LBB3_1
.LBB3_41:                               ;   in Loop: Header=BB3_3 Depth=1
	v_or_b32_e32 v2, 0xffffff00, v2
	v_lshlrev_b16_e32 v4, 8, v23
	v_and_b32_e32 v2, 0xffff, v2
	v_or_b32_sdwa v4, v4, v16 dst_sel:WORD_1 dst_unused:UNUSED_PAD src0_sel:DWORD src1_sel:DWORD
	v_mad_u32_u24 v6, v0, s17, v22
	v_add_u32_e32 v22, 8, v22
	v_or_b32_e32 v4, v2, v4
	v_lshl_or_b32 v5, v23, 24, v2
	ds_write_b64 v6, v[4:5] offset:1600
	s_branch .LBB3_1
.LBB3_42:
	s_endpgm
	.section	.rodata,"a",@progbits
	.p2align	6, 0x0
	.amdhsa_kernel _Z7dfs_gpuILi12EEvPl
		.amdhsa_group_segment_fixed_size 3216
		.amdhsa_private_segment_fixed_size 0
		.amdhsa_kernarg_size 8
		.amdhsa_user_sgpr_count 6
		.amdhsa_user_sgpr_private_segment_buffer 1
		.amdhsa_user_sgpr_dispatch_ptr 0
		.amdhsa_user_sgpr_queue_ptr 0
		.amdhsa_user_sgpr_kernarg_segment_ptr 1
		.amdhsa_user_sgpr_dispatch_id 0
		.amdhsa_user_sgpr_flat_scratch_init 0
		.amdhsa_user_sgpr_kernarg_preload_length 0
		.amdhsa_user_sgpr_kernarg_preload_offset 0
		.amdhsa_user_sgpr_private_segment_size 0
		.amdhsa_uses_dynamic_stack 0
		.amdhsa_system_sgpr_private_segment_wavefront_offset 0
		.amdhsa_system_sgpr_workgroup_id_x 1
		.amdhsa_system_sgpr_workgroup_id_y 0
		.amdhsa_system_sgpr_workgroup_id_z 0
		.amdhsa_system_sgpr_workgroup_info 0
		.amdhsa_system_vgpr_workitem_id 0
		.amdhsa_next_free_vgpr 36
		.amdhsa_next_free_sgpr 29
		.amdhsa_accum_offset 36
		.amdhsa_reserve_vcc 1
		.amdhsa_reserve_flat_scratch 0
		.amdhsa_float_round_mode_32 0
		.amdhsa_float_round_mode_16_64 0
		.amdhsa_float_denorm_mode_32 3
		.amdhsa_float_denorm_mode_16_64 3
		.amdhsa_dx10_clamp 1
		.amdhsa_ieee_mode 1
		.amdhsa_fp16_overflow 0
		.amdhsa_tg_split 0
		.amdhsa_exception_fp_ieee_invalid_op 0
		.amdhsa_exception_fp_denorm_src 0
		.amdhsa_exception_fp_ieee_div_zero 0
		.amdhsa_exception_fp_ieee_overflow 0
		.amdhsa_exception_fp_ieee_underflow 0
		.amdhsa_exception_fp_ieee_inexact 0
		.amdhsa_exception_int_div_zero 0
	.end_amdhsa_kernel
	.section	.text._Z7dfs_gpuILi12EEvPl,"axG",@progbits,_Z7dfs_gpuILi12EEvPl,comdat
.Lfunc_end3:
	.size	_Z7dfs_gpuILi12EEvPl, .Lfunc_end3-_Z7dfs_gpuILi12EEvPl
                                        ; -- End function
	.section	.AMDGPU.csdata,"",@progbits
; Kernel info:
; codeLenInByte = 1728
; NumSgprs: 33
; NumVgprs: 36
; NumAgprs: 0
; TotalNumVgprs: 36
; ScratchSize: 0
; MemoryBound: 0
; FloatMode: 240
; IeeeMode: 1
; LDSByteSize: 3216 bytes/workgroup (compile time only)
; SGPRBlocks: 4
; VGPRBlocks: 4
; NumSGPRsForWavesPerEU: 33
; NumVGPRsForWavesPerEU: 36
; AccumOffset: 36
; Occupancy: 8
; WaveLimiterHint : 0
; COMPUTE_PGM_RSRC2:SCRATCH_EN: 0
; COMPUTE_PGM_RSRC2:USER_SGPR: 6
; COMPUTE_PGM_RSRC2:TRAP_HANDLER: 0
; COMPUTE_PGM_RSRC2:TGID_X_EN: 1
; COMPUTE_PGM_RSRC2:TGID_Y_EN: 0
; COMPUTE_PGM_RSRC2:TGID_Z_EN: 0
; COMPUTE_PGM_RSRC2:TIDIG_COMP_CNT: 0
; COMPUTE_PGM_RSRC3_GFX90A:ACCUM_OFFSET: 8
; COMPUTE_PGM_RSRC3_GFX90A:TG_SPLIT: 0
	.section	.text._Z7dfs_gpuILi15EEvPl,"axG",@progbits,_Z7dfs_gpuILi15EEvPl,comdat
	.protected	_Z7dfs_gpuILi15EEvPl    ; -- Begin function _Z7dfs_gpuILi15EEvPl
	.globl	_Z7dfs_gpuILi15EEvPl
	.p2align	8
	.type	_Z7dfs_gpuILi15EEvPl,@function
_Z7dfs_gpuILi15EEvPl:                   ; @_Z7dfs_gpuILi15EEvPl
; %bb.0:
	s_load_dwordx2 s[2:3], s[4:5], 0x0
	v_mov_b32_e32 v3, 0xf50
	v_mul_u32_u24_e32 v2, 0x7c, v0
	v_lshl_add_u32 v14, v0, 4, v3
	v_mov_b32_e32 v3, 0x7fff
	ds_write_b32 v2, v3 offset:3424
	v_mov_b32_e32 v3, 0
	v_mul_u32_u24_e32 v1, 0x1f0, v0
	v_mov_b32_e32 v2, v3
	v_mov_b32_e32 v4, v3
	v_mov_b32_e32 v5, v3
	v_mul_u32_u24_e32 v6, 0x168, v0
	ds_write_b128 v1, v[2:5]
	v_mov_b32_e32 v2, 0xff00
	v_lshl_add_u32 v8, s6, 2, v0
	s_movk_i32 s17, 0x168
	ds_write_b32 v6, v2 offset:1984
	s_waitcnt lgkmcnt(0)
	s_add_u32 s18, s2, 8
	v_mov_b32_e32 v2, 0x7c0
	s_movk_i32 s16, 0x7c
	v_ashrrev_i32_e32 v9, 31, v8
	s_addc_u32 s19, s3, 0
	s_mov_b64 s[4:5], 0
	v_mov_b32_e32 v24, 4
	v_mad_u32_u24 v15, v0, s17, v2
	s_mov_b64 s[6:7], 0x20000000
	s_mov_b64 s[8:9], 0x5f5e100
	s_mov_b32 s20, 0x1ffff
	s_movk_i32 s21, 0x3fff
	s_movk_i32 s22, 0x3ffe
	v_mov_b32_e32 v16, 1
	v_mov_b32_e32 v17, 28
	;; [unrolled: 1-line block ×4, first 2 shown]
	s_mov_b32 s23, 0x103c3ce1
	v_bfrev_b32_e32 v20, 15
	v_mov_b32_e32 v21, 15
	s_branch .LBB4_3
.LBB4_1:                                ;   in Loop: Header=BB4_3 Depth=1
	s_or_b64 exec, exec, s[0:1]
.LBB4_2:                                ;   in Loop: Header=BB4_3 Depth=1
	s_or_b64 exec, exec, s[10:11]
	v_cmp_eq_u32_e32 vcc, 0, v22
	s_or_b64 s[4:5], vcc, s[4:5]
	v_mov_b32_e32 v24, v22
	s_andn2_b64 exec, exec, s[4:5]
	s_cbranch_execz .LBB4_42
.LBB4_3:                                ; =>This Inner Loop Header: Depth=1
	v_add_u32_e32 v22, -4, v24
	v_add_u32_e32 v27, v15, v22
	ds_read_u8 v29, v27
	v_add_u32_e32 v2, v24, v15
	v_add_u32_e32 v25, -1, v2
	v_add_u32_e32 v26, -2, v2
	;; [unrolled: 1-line block ×3, first 2 shown]
	s_waitcnt lgkmcnt(0)
	v_bfe_i32 v13, v29, 0, 8
	v_lshlrev_b32_e32 v2, 4, v13
	v_add_u32_e32 v11, v1, v2
	v_lshlrev_b32_e32 v2, 2, v13
	ds_read_u8 v23, v25
	ds_read_u8 v30, v26
	ds_read_i8 v12, v28
	v_mad_u32_u24 v2, v0, s16, v2
	ds_read_b128 v[4:7], v11
	ds_read_b32 v10, v2 offset:3424
	s_waitcnt lgkmcnt(3)
	v_cmp_ne_u16_e64 s[0:1], 0, v30
	s_waitcnt lgkmcnt(2)
	v_cmp_gt_i16_e32 vcc, 0, v12
	s_waitcnt lgkmcnt(1)
	ds_write_b128 v11, v[4:7] offset:16
	s_and_saveexec_b64 s[10:11], s[0:1]
	s_xor_b64 s[10:11], exec, s[10:11]
	s_cbranch_execz .LBB4_9
; %bb.4:                                ;   in Loop: Header=BB4_3 Depth=1
	s_and_saveexec_b64 s[0:1], vcc
	s_xor_b64 s[0:1], exec, s[0:1]
	s_cbranch_execz .LBB4_6
; %bb.5:                                ;   in Loop: Header=BB4_3 Depth=1
	v_lshrrev_b64 v[12:13], v13, s[6:7]
	v_or_b32_e32 v7, v7, v13
	v_or_b32_e32 v6, v6, v12
	ds_write_b64 v11, v[6:7] offset:24
	v_add_u16_e32 v23, 1, v23
                                        ; implicit-def: $vgpr12
                                        ; implicit-def: $vgpr11
.LBB4_6:                                ;   in Loop: Header=BB4_3 Depth=1
	s_andn2_saveexec_b64 s[12:13], s[0:1]
	s_cbranch_execz .LBB4_8
; %bb.7:                                ;   in Loop: Header=BB4_3 Depth=1
	v_add_u32_sdwa v13, v14, sext(v12) dst_sel:DWORD dst_unused:UNUSED_PAD src0_sel:DWORD src1_sel:WORD_0
	v_lshlrev_b32_sdwa v12, sext(v12), v16 dst_sel:DWORD dst_unused:UNUSED_PAD src0_sel:WORD_0 src1_sel:DWORD
	s_waitcnt lgkmcnt(1)
	v_xor_b32_e32 v10, v10, v12
	v_add_co_u32_e64 v12, s[0:1], -1, v6
	ds_write_b8 v13, v29
	v_addc_co_u32_e64 v13, s[0:1], -1, v7, s[0:1]
	v_and_b32_e32 v7, v13, v7
	v_and_b32_e32 v6, v12, v6
	ds_write_b64 v11, v[6:7] offset:24
.LBB4_8:                                ;   in Loop: Header=BB4_3 Depth=1
	s_or_b64 exec, exec, s[12:13]
                                        ; implicit-def: $vgpr12
                                        ; implicit-def: $vgpr11
                                        ; implicit-def: $vgpr13
.LBB4_9:                                ;   in Loop: Header=BB4_3 Depth=1
	s_andn2_saveexec_b64 s[0:1], s[10:11]
	s_cbranch_execz .LBB4_15
; %bb.10:                               ;   in Loop: Header=BB4_3 Depth=1
	s_and_saveexec_b64 s[10:11], vcc
	s_xor_b64 s[10:11], exec, s[10:11]
	s_cbranch_execz .LBB4_12
; %bb.11:                               ;   in Loop: Header=BB4_3 Depth=1
	v_lshrrev_b64 v[12:13], v13, s[6:7]
	v_or_b32_e32 v5, v13, v5
	v_or_b32_e32 v4, v12, v4
	ds_write_b64 v11, v[4:5] offset:16
	v_add_u16_e32 v23, 1, v23
                                        ; implicit-def: $vgpr12
                                        ; implicit-def: $vgpr11
.LBB4_12:                               ;   in Loop: Header=BB4_3 Depth=1
	s_andn2_saveexec_b64 s[10:11], s[10:11]
	s_cbranch_execz .LBB4_14
; %bb.13:                               ;   in Loop: Header=BB4_3 Depth=1
	v_add_u32_sdwa v13, v14, sext(v12) dst_sel:DWORD dst_unused:UNUSED_PAD src0_sel:DWORD src1_sel:WORD_0
	v_lshlrev_b32_sdwa v12, sext(v12), v16 dst_sel:DWORD dst_unused:UNUSED_PAD src0_sel:WORD_0 src1_sel:DWORD
	s_waitcnt lgkmcnt(1)
	v_xor_b32_e32 v10, v10, v12
	v_add_co_u32_e32 v12, vcc, -1, v4
	ds_write_b8 v13, v29
	v_addc_co_u32_e32 v13, vcc, -1, v5, vcc
	v_and_b32_e32 v5, v13, v5
	v_and_b32_e32 v4, v12, v4
	ds_write_b64 v11, v[4:5] offset:16
.LBB4_14:                               ;   in Loop: Header=BB4_3 Depth=1
	s_or_b64 exec, exec, s[10:11]
.LBB4_15:                               ;   in Loop: Header=BB4_3 Depth=1
	s_or_b64 exec, exec, s[0:1]
	v_add_u32_e32 v2, 0xd60, v2
	v_cmp_gt_i16_sdwa s[0:1], v29, v17 src0_sel:BYTE_0 src1_sel:DWORD
	s_mov_b64 s[12:13], 0
	s_waitcnt lgkmcnt(1)
	ds_write_b32 v2, v10 offset:4
	s_and_saveexec_b64 s[10:11], s[0:1]
	s_xor_b64 s[0:1], exec, s[10:11]
	s_cbranch_execnz .LBB4_18
; %bb.16:                               ;   in Loop: Header=BB4_3 Depth=1
	s_andn2_saveexec_b64 s[10:11], s[0:1]
	s_cbranch_execnz .LBB4_25
.LBB4_17:                               ;   in Loop: Header=BB4_3 Depth=1
	s_or_b64 exec, exec, s[10:11]
	s_and_saveexec_b64 s[10:11], s[12:13]
	s_cbranch_execz .LBB4_2
	s_branch .LBB4_28
.LBB4_18:                               ;   in Loop: Header=BB4_3 Depth=1
	v_cmp_eq_u16_sdwa s[14:15], v29, v18 src0_sel:BYTE_0 src1_sel:DWORD
	s_mov_b64 s[12:13], -1
	s_and_saveexec_b64 s[10:11], s[14:15]
	s_cbranch_execz .LBB4_24
; %bb.19:                               ;   in Loop: Header=BB4_3 Depth=1
	s_mov_b64 s[14:15], exec
	v_mbcnt_lo_u32_b32 v2, s14, 0
	v_mbcnt_hi_u32_b32 v11, s15, v2
	v_cmp_eq_u32_e32 vcc, 0, v11
                                        ; implicit-def: $vgpr12_vgpr13
	s_and_saveexec_b64 s[12:13], vcc
	s_cbranch_execz .LBB4_21
; %bb.20:                               ;   in Loop: Header=BB4_3 Depth=1
	s_bcnt1_i32_b64 s14, s[14:15]
	v_mov_b32_e32 v2, s14
	global_atomic_add_x2 v[12:13], v3, v[2:3], s[2:3] glc
.LBB4_21:                               ;   in Loop: Header=BB4_3 Depth=1
	s_or_b64 exec, exec, s[12:13]
	s_waitcnt vmcnt(0)
	v_readfirstlane_b32 s12, v13
	v_readfirstlane_b32 s13, v12
	v_mov_b32_e32 v2, s12
	v_add_co_u32_e32 v12, vcc, s13, v11
	v_addc_co_u32_e32 v13, vcc, 0, v2, vcc
	v_cmp_gt_i64_e32 vcc, s[8:9], v[12:13]
	s_and_saveexec_b64 s[12:13], vcc
	s_cbranch_execz .LBB4_23
; %bb.22:                               ;   in Loop: Header=BB4_3 Depth=1
	ds_read_b128 v[30:33], v14
	v_lshlrev_b64 v[12:13], 4, v[12:13]
	v_mov_b32_e32 v2, s19
	v_add_co_u32_e32 v12, vcc, s18, v12
	v_addc_co_u32_e32 v13, vcc, v2, v13, vcc
	s_waitcnt lgkmcnt(0)
	global_store_dwordx4 v[12:13], v[30:33], off
.LBB4_23:                               ;   in Loop: Header=BB4_3 Depth=1
	s_or_b64 exec, exec, s[12:13]
	s_xor_b64 s[12:13], exec, -1
.LBB4_24:                               ;   in Loop: Header=BB4_3 Depth=1
	s_or_b64 exec, exec, s[10:11]
	s_and_b64 s[12:13], s[12:13], exec
	s_andn2_saveexec_b64 s[10:11], s[0:1]
	s_cbranch_execz .LBB4_17
.LBB4_25:                               ;   in Loop: Header=BB4_3 Depth=1
	v_cmp_eq_u16_sdwa s[24:25], v29, v19 src0_sel:BYTE_0 src1_sel:DWORD
	s_mov_b64 s[0:1], -1
	s_and_saveexec_b64 s[14:15], s[24:25]
	s_cbranch_execz .LBB4_27
; %bb.26:                               ;   in Loop: Header=BB4_3 Depth=1
	v_sub_co_u32_e32 v2, vcc, v6, v4
	v_ashrrev_i32_e32 v11, 31, v10
	v_mad_u64_u32 v[12:13], s[0:1], v2, s20, v[10:11]
	v_subb_co_u32_e32 v30, vcc, v7, v5, vcc
	v_mov_b32_e32 v2, v13
	v_mad_u64_u32 v[30:31], s[0:1], v30, s20, v[2:3]
	s_add_u32 s0, 0x3c3dd, s23
	s_addc_u32 s1, 0, 0
	v_add_co_u32_e32 v2, vcc, s0, v20
	s_cmp_lg_u64 vcc, 0
	v_readfirstlane_b32 s24, v2
	s_addc_u32 s0, s1, 0x4000f
	s_mul_hi_u32 s25, s24, 0xffffc001
	s_mul_i32 s1, s0, 0xffffc001
	s_sub_i32 s25, s25, s24
	s_add_i32 s25, s25, s1
	s_mul_i32 s27, s24, 0xffffc001
	s_mul_hi_u32 s1, s24, s25
	s_mul_i32 s26, s24, s25
	s_mul_hi_u32 s24, s24, s27
	s_add_u32 s24, s24, s26
	s_addc_u32 s1, 0, s1
	s_mul_hi_u32 s28, s0, s27
	s_mul_i32 s27, s0, s27
	s_add_u32 s24, s24, s27
	s_mul_hi_u32 s26, s0, s25
	s_addc_u32 s1, s1, s28
	s_addc_u32 s24, s26, 0
	s_mul_i32 s25, s0, s25
	s_add_u32 s1, s1, s25
	s_addc_u32 s24, 0, s24
	v_add_co_u32_e32 v2, vcc, s1, v2
	s_cmp_lg_u64 vcc, 0
	s_addc_u32 s24, s0, s24
	v_mad_u64_u32 v[32:33], s[0:1], v12, s24, 0
	v_mul_hi_u32 v11, v12, v2
	v_add_co_u32_e32 v11, vcc, v11, v32
	v_addc_co_u32_e32 v13, vcc, 0, v33, vcc
	v_mad_u64_u32 v[34:35], s[0:1], v30, v2, 0
	v_add_co_u32_e32 v2, vcc, v11, v34
	v_mad_u64_u32 v[32:33], s[0:1], v30, s24, 0
	v_addc_co_u32_e32 v2, vcc, v13, v35, vcc
	v_addc_co_u32_e32 v11, vcc, 0, v33, vcc
	v_add_co_u32_e32 v2, vcc, v2, v32
	v_mad_u64_u32 v[32:33], s[0:1], v2, s21, 0
	v_addc_co_u32_e32 v11, vcc, 0, v11, vcc
	v_mov_b32_e32 v2, v33
	v_mad_u64_u32 v[34:35], s[0:1], v11, s21, v[2:3]
	v_sub_co_u32_e32 v2, vcc, v12, v32
	v_subb_co_u32_e32 v11, vcc, v30, v34, vcc
	v_subrev_co_u32_e32 v12, vcc, s21, v2
	v_subbrev_co_u32_e32 v13, vcc, 0, v11, vcc
	v_subrev_co_u32_e32 v30, vcc, s21, v12
	v_subbrev_co_u32_e32 v31, vcc, 0, v13, vcc
	v_cmp_lt_u32_e32 vcc, s22, v12
	v_cndmask_b32_e64 v32, 0, -1, vcc
	v_cmp_eq_u32_e32 vcc, 0, v13
	v_cndmask_b32_e32 v32, -1, v32, vcc
	v_cmp_ne_u32_e32 vcc, 0, v32
	v_cmp_lt_u32_e64 s[0:1], s22, v2
	v_cndmask_b32_e32 v13, v13, v31, vcc
	v_cndmask_b32_e64 v31, 0, -1, s[0:1]
	v_cmp_eq_u32_e64 s[0:1], 0, v11
	v_cndmask_b32_e64 v31, -1, v31, s[0:1]
	v_cmp_ne_u32_e64 s[0:1], 0, v31
	v_cndmask_b32_e64 v13, v11, v13, s[0:1]
	v_cndmask_b32_e32 v11, v12, v30, vcc
	v_cndmask_b32_e64 v12, v2, v11, s[0:1]
	v_cmp_eq_u64_e32 vcc, v[12:13], v[8:9]
	s_orn2_b64 s[0:1], vcc, exec
.LBB4_27:                               ;   in Loop: Header=BB4_3 Depth=1
	s_or_b64 exec, exec, s[14:15]
	s_andn2_b64 s[12:13], s[12:13], exec
	s_and_b64 s[0:1], s[0:1], exec
	s_or_b64 s[12:13], s[12:13], s[0:1]
	s_or_b64 exec, exec, s[10:11]
	s_and_saveexec_b64 s[10:11], s[12:13]
	s_cbranch_execz .LBB4_2
.LBB4_28:                               ;   in Loop: Header=BB4_3 Depth=1
	v_add_u16_e32 v2, 1, v29
	v_bfe_i32 v2, v2, 0, 8
	v_subrev_u16_e32 v11, 30, v29
	v_cmp_gt_i16_e32 vcc, 16, v2
	v_cmp_ne_u64_e64 s[0:1], 0, v[4:5]
	s_and_saveexec_b64 s[12:13], s[0:1]
	s_cbranch_execnz .LBB4_31
; %bb.29:                               ;   in Loop: Header=BB4_3 Depth=1
	s_or_b64 exec, exec, s[12:13]
	v_cmp_ne_u64_e64 s[0:1], 0, v[6:7]
	s_and_saveexec_b64 s[12:13], s[0:1]
	s_cbranch_execnz .LBB4_36
.LBB4_30:                               ;   in Loop: Header=BB4_3 Depth=1
	s_or_b64 exec, exec, s[12:13]
	v_cmp_lt_i16_sdwa s[12:13], sext(v23), v21 src0_sel:BYTE_0 src1_sel:DWORD
	s_and_saveexec_b64 s[0:1], s[12:13]
	s_cbranch_execz .LBB4_1
	s_branch .LBB4_41
.LBB4_31:                               ;   in Loop: Header=BB4_3 Depth=1
	v_ffbl_b32_e32 v5, v5
	v_add_u32_e32 v5, 32, v5
	v_ffbl_b32_e32 v4, v4
	v_min_u32_e32 v4, v4, v5
	v_add_u16_e32 v4, v11, v4
	v_cmp_lt_u16_sdwa s[0:1], v4, v21 src0_sel:BYTE_0 src1_sel:DWORD
	s_and_saveexec_b64 s[14:15], s[0:1]
	s_cbranch_execz .LBB4_35
; %bb.32:                               ;   in Loop: Header=BB4_3 Depth=1
	v_lshrrev_b32_e32 v5, v4, v10
	v_and_b32_e32 v5, 1, v5
	v_cmp_ne_u16_sdwa s[24:25], v4, v3 src0_sel:BYTE_0 src1_sel:DWORD
	v_cmp_eq_u32_e64 s[0:1], 1, v5
	s_or_b64 s[24:25], vcc, s[24:25]
	s_and_b64 s[24:25], s[24:25], s[0:1]
	s_and_saveexec_b64 s[0:1], s[24:25]
	s_cbranch_execz .LBB4_34
; %bb.33:                               ;   in Loop: Header=BB4_3 Depth=1
	v_mov_b32_e32 v22, v24
	ds_write_b8 v27, v2
	ds_write_b8 v28, v4
	ds_write_b8 v26, v3
	ds_write_b8 v25, v23
.LBB4_34:                               ;   in Loop: Header=BB4_3 Depth=1
	s_or_b64 exec, exec, s[0:1]
.LBB4_35:                               ;   in Loop: Header=BB4_3 Depth=1
	s_or_b64 exec, exec, s[14:15]
	s_or_b64 exec, exec, s[12:13]
	v_cmp_ne_u64_e64 s[0:1], 0, v[6:7]
	s_and_saveexec_b64 s[12:13], s[0:1]
	s_cbranch_execz .LBB4_30
.LBB4_36:                               ;   in Loop: Header=BB4_3 Depth=1
	v_ffbl_b32_e32 v4, v7
	v_add_u32_e32 v4, 32, v4
	v_ffbl_b32_e32 v5, v6
	v_min_u32_e32 v4, v5, v4
	v_add_u16_e32 v4, v11, v4
	v_cmp_lt_u16_sdwa s[0:1], v4, v21 src0_sel:BYTE_0 src1_sel:DWORD
	s_and_saveexec_b64 s[14:15], s[0:1]
	s_cbranch_execz .LBB4_40
; %bb.37:                               ;   in Loop: Header=BB4_3 Depth=1
	v_lshrrev_b32_e32 v5, v4, v10
	v_and_b32_e32 v5, 1, v5
	v_cmp_ne_u16_sdwa s[24:25], v4, v3 src0_sel:BYTE_0 src1_sel:DWORD
	v_cmp_eq_u32_e64 s[0:1], 1, v5
	s_or_b64 s[24:25], vcc, s[24:25]
	s_and_b64 s[24:25], s[24:25], s[0:1]
	s_and_saveexec_b64 s[0:1], s[24:25]
	s_cbranch_execz .LBB4_39
; %bb.38:                               ;   in Loop: Header=BB4_3 Depth=1
	v_mad_u32_u24 v5, v0, s17, v22
	v_add_u32_e32 v22, 4, v22
	ds_write_b8 v5, v2 offset:1984
	ds_write_b8 v5, v4 offset:1985
	;; [unrolled: 1-line block ×4, first 2 shown]
.LBB4_39:                               ;   in Loop: Header=BB4_3 Depth=1
	s_or_b64 exec, exec, s[0:1]
.LBB4_40:                               ;   in Loop: Header=BB4_3 Depth=1
	s_or_b64 exec, exec, s[14:15]
	s_or_b64 exec, exec, s[12:13]
	v_cmp_lt_i16_sdwa s[12:13], sext(v23), v21 src0_sel:BYTE_0 src1_sel:DWORD
	s_and_saveexec_b64 s[0:1], s[12:13]
	s_cbranch_execz .LBB4_1
.LBB4_41:                               ;   in Loop: Header=BB4_3 Depth=1
	v_or_b32_e32 v2, 0xffffff00, v2
	v_lshlrev_b16_e32 v4, 8, v23
	v_and_b32_e32 v2, 0xffff, v2
	v_or_b32_sdwa v4, v4, v16 dst_sel:WORD_1 dst_unused:UNUSED_PAD src0_sel:DWORD src1_sel:DWORD
	v_mad_u32_u24 v6, v0, s17, v22
	v_add_u32_e32 v22, 8, v22
	v_or_b32_e32 v4, v2, v4
	v_lshl_or_b32 v5, v23, 24, v2
	ds_write_b64 v6, v[4:5] offset:1984
	s_branch .LBB4_1
.LBB4_42:
	s_endpgm
	.section	.rodata,"a",@progbits
	.p2align	6, 0x0
	.amdhsa_kernel _Z7dfs_gpuILi15EEvPl
		.amdhsa_group_segment_fixed_size 3984
		.amdhsa_private_segment_fixed_size 0
		.amdhsa_kernarg_size 8
		.amdhsa_user_sgpr_count 6
		.amdhsa_user_sgpr_private_segment_buffer 1
		.amdhsa_user_sgpr_dispatch_ptr 0
		.amdhsa_user_sgpr_queue_ptr 0
		.amdhsa_user_sgpr_kernarg_segment_ptr 1
		.amdhsa_user_sgpr_dispatch_id 0
		.amdhsa_user_sgpr_flat_scratch_init 0
		.amdhsa_user_sgpr_kernarg_preload_length 0
		.amdhsa_user_sgpr_kernarg_preload_offset 0
		.amdhsa_user_sgpr_private_segment_size 0
		.amdhsa_uses_dynamic_stack 0
		.amdhsa_system_sgpr_private_segment_wavefront_offset 0
		.amdhsa_system_sgpr_workgroup_id_x 1
		.amdhsa_system_sgpr_workgroup_id_y 0
		.amdhsa_system_sgpr_workgroup_id_z 0
		.amdhsa_system_sgpr_workgroup_info 0
		.amdhsa_system_vgpr_workitem_id 0
		.amdhsa_next_free_vgpr 36
		.amdhsa_next_free_sgpr 29
		.amdhsa_accum_offset 36
		.amdhsa_reserve_vcc 1
		.amdhsa_reserve_flat_scratch 0
		.amdhsa_float_round_mode_32 0
		.amdhsa_float_round_mode_16_64 0
		.amdhsa_float_denorm_mode_32 3
		.amdhsa_float_denorm_mode_16_64 3
		.amdhsa_dx10_clamp 1
		.amdhsa_ieee_mode 1
		.amdhsa_fp16_overflow 0
		.amdhsa_tg_split 0
		.amdhsa_exception_fp_ieee_invalid_op 0
		.amdhsa_exception_fp_denorm_src 0
		.amdhsa_exception_fp_ieee_div_zero 0
		.amdhsa_exception_fp_ieee_overflow 0
		.amdhsa_exception_fp_ieee_underflow 0
		.amdhsa_exception_fp_ieee_inexact 0
		.amdhsa_exception_int_div_zero 0
	.end_amdhsa_kernel
	.section	.text._Z7dfs_gpuILi15EEvPl,"axG",@progbits,_Z7dfs_gpuILi15EEvPl,comdat
.Lfunc_end4:
	.size	_Z7dfs_gpuILi15EEvPl, .Lfunc_end4-_Z7dfs_gpuILi15EEvPl
                                        ; -- End function
	.section	.AMDGPU.csdata,"",@progbits
; Kernel info:
; codeLenInByte = 1728
; NumSgprs: 33
; NumVgprs: 36
; NumAgprs: 0
; TotalNumVgprs: 36
; ScratchSize: 0
; MemoryBound: 0
; FloatMode: 240
; IeeeMode: 1
; LDSByteSize: 3984 bytes/workgroup (compile time only)
; SGPRBlocks: 4
; VGPRBlocks: 4
; NumSGPRsForWavesPerEU: 33
; NumVGPRsForWavesPerEU: 36
; AccumOffset: 36
; Occupancy: 8
; WaveLimiterHint : 0
; COMPUTE_PGM_RSRC2:SCRATCH_EN: 0
; COMPUTE_PGM_RSRC2:USER_SGPR: 6
; COMPUTE_PGM_RSRC2:TRAP_HANDLER: 0
; COMPUTE_PGM_RSRC2:TGID_X_EN: 1
; COMPUTE_PGM_RSRC2:TGID_Y_EN: 0
; COMPUTE_PGM_RSRC2:TGID_Z_EN: 0
; COMPUTE_PGM_RSRC2:TIDIG_COMP_CNT: 0
; COMPUTE_PGM_RSRC3_GFX90A:ACCUM_OFFSET: 8
; COMPUTE_PGM_RSRC3_GFX90A:TG_SPLIT: 0
	.text
	.p2alignl 6, 3212836864
	.fill 256, 4, 3212836864
	.type	__hip_cuid_1b25481310074fc8,@object ; @__hip_cuid_1b25481310074fc8
	.section	.bss,"aw",@nobits
	.globl	__hip_cuid_1b25481310074fc8
__hip_cuid_1b25481310074fc8:
	.byte	0                               ; 0x0
	.size	__hip_cuid_1b25481310074fc8, 1

	.ident	"AMD clang version 19.0.0git (https://github.com/RadeonOpenCompute/llvm-project roc-6.4.0 25133 c7fe45cf4b819c5991fe208aaa96edf142730f1d)"
	.section	".note.GNU-stack","",@progbits
	.addrsig
	.addrsig_sym __hip_cuid_1b25481310074fc8
	.amdgpu_metadata
---
amdhsa.kernels:
  - .agpr_count:     0
    .args:
      - .address_space:  global
        .offset:         0
        .size:           8
        .value_kind:     global_buffer
    .group_segment_fixed_size: 1904
    .kernarg_segment_align: 8
    .kernarg_segment_size: 8
    .language:       OpenCL C
    .language_version:
      - 2
      - 0
    .max_flat_workgroup_size: 1024
    .name:           _Z7dfs_gpuILi7EEvPl
    .private_segment_fixed_size: 0
    .sgpr_count:     32
    .sgpr_spill_count: 0
    .symbol:         _Z7dfs_gpuILi7EEvPl.kd
    .uniform_work_group_size: 1
    .uses_dynamic_stack: false
    .vgpr_count:     36
    .vgpr_spill_count: 0
    .wavefront_size: 64
  - .agpr_count:     0
    .args:
      - .address_space:  global
        .offset:         0
        .size:           8
        .value_kind:     global_buffer
    .group_segment_fixed_size: 2160
    .kernarg_segment_align: 8
    .kernarg_segment_size: 8
    .language:       OpenCL C
    .language_version:
      - 2
      - 0
    .max_flat_workgroup_size: 1024
    .name:           _Z7dfs_gpuILi8EEvPl
    .private_segment_fixed_size: 0
    .sgpr_count:     33
    .sgpr_spill_count: 0
    .symbol:         _Z7dfs_gpuILi8EEvPl.kd
    .uniform_work_group_size: 1
    .uses_dynamic_stack: false
    .vgpr_count:     36
    .vgpr_spill_count: 0
    .wavefront_size: 64
  - .agpr_count:     0
    .args:
      - .address_space:  global
        .offset:         0
        .size:           8
        .value_kind:     global_buffer
    .group_segment_fixed_size: 2960
    .kernarg_segment_align: 8
    .kernarg_segment_size: 8
    .language:       OpenCL C
    .language_version:
      - 2
      - 0
    .max_flat_workgroup_size: 1024
    .name:           _Z7dfs_gpuILi11EEvPl
    .private_segment_fixed_size: 0
    .sgpr_count:     33
    .sgpr_spill_count: 0
    .symbol:         _Z7dfs_gpuILi11EEvPl.kd
    .uniform_work_group_size: 1
    .uses_dynamic_stack: false
    .vgpr_count:     36
    .vgpr_spill_count: 0
    .wavefront_size: 64
  - .agpr_count:     0
    .args:
      - .address_space:  global
        .offset:         0
        .size:           8
        .value_kind:     global_buffer
    .group_segment_fixed_size: 3216
    .kernarg_segment_align: 8
    .kernarg_segment_size: 8
    .language:       OpenCL C
    .language_version:
      - 2
      - 0
    .max_flat_workgroup_size: 1024
    .name:           _Z7dfs_gpuILi12EEvPl
    .private_segment_fixed_size: 0
    .sgpr_count:     33
    .sgpr_spill_count: 0
    .symbol:         _Z7dfs_gpuILi12EEvPl.kd
    .uniform_work_group_size: 1
    .uses_dynamic_stack: false
    .vgpr_count:     36
    .vgpr_spill_count: 0
    .wavefront_size: 64
  - .agpr_count:     0
    .args:
      - .address_space:  global
        .offset:         0
        .size:           8
        .value_kind:     global_buffer
    .group_segment_fixed_size: 3984
    .kernarg_segment_align: 8
    .kernarg_segment_size: 8
    .language:       OpenCL C
    .language_version:
      - 2
      - 0
    .max_flat_workgroup_size: 1024
    .name:           _Z7dfs_gpuILi15EEvPl
    .private_segment_fixed_size: 0
    .sgpr_count:     33
    .sgpr_spill_count: 0
    .symbol:         _Z7dfs_gpuILi15EEvPl.kd
    .uniform_work_group_size: 1
    .uses_dynamic_stack: false
    .vgpr_count:     36
    .vgpr_spill_count: 0
    .wavefront_size: 64
amdhsa.target:   amdgcn-amd-amdhsa--gfx90a
amdhsa.version:
  - 1
  - 2
...

	.end_amdgpu_metadata
